;; amdgpu-corpus repo=ROCm/vllm kind=compiled arch=gfx906 opt=O3
	.amdgcn_target "amdgcn-amd-amdhsa--gfx906"
	.amdhsa_code_object_version 6
	.text
	.protected	_Z37convert_vertical_slash_indexes_kernelPKiS0_S0_S0_PiS1_S1_S1_llllllb ; -- Begin function _Z37convert_vertical_slash_indexes_kernelPKiS0_S0_S0_PiS1_S1_S1_llllllb
	.globl	_Z37convert_vertical_slash_indexes_kernelPKiS0_S0_S0_PiS1_S1_S1_llllllb
	.p2align	8
	.type	_Z37convert_vertical_slash_indexes_kernelPKiS0_S0_S0_PiS1_S1_S1_llllllb,@function
_Z37convert_vertical_slash_indexes_kernelPKiS0_S0_S0_PiS1_S1_S1_llllllb: ; @_Z37convert_vertical_slash_indexes_kernelPKiS0_S0_S0_PiS1_S1_S1_llllllb
; %bb.0:
	s_mov_b32 s2, s7
	s_load_dwordx16 s[12:27], s[4:5], 0x0
	s_load_dwordx8 s[36:43], s[4:5], 0x40
	s_load_dword s7, s[4:5], 0x84
	s_ashr_i32 s3, s2, 31
	s_lshl_b64 s[30:31], s[2:3], 2
	s_waitcnt lgkmcnt(0)
	s_add_u32 s0, s12, s30
	s_addc_u32 s1, s13, s31
	s_and_b32 s7, s7, 0xffff
	s_mul_i32 s8, s8, s7
	v_add_u32_e32 v4, s8, v0
	v_mad_u64_u32 v[0:1], s[8:9], s40, v4, 0
	s_load_dword s12, s[0:1], 0x0
	v_mad_u64_u32 v[1:2], s[0:1], s41, v4, v[1:2]
	s_waitcnt lgkmcnt(0)
	s_ashr_i32 s13, s12, 31
	v_cmp_gt_i64_e32 vcc, s[12:13], v[0:1]
	s_and_saveexec_b64 s[0:1], vcc
	s_cbranch_execz .LBB0_79
; %bb.1:
	s_load_dword s7, s[4:5], 0x70
	s_load_dwordx4 s[8:11], s[4:5], 0x60
	s_mul_i32 s3, s36, s3
	v_mov_b32_e32 v2, s41
	v_add_co_u32_e32 v12, vcc, s40, v0
	s_waitcnt lgkmcnt(0)
	s_bitcmp1_b32 s7, 0
	s_cselect_b64 s[28:29], -1, 0
	s_add_u32 s4, s14, s30
	s_addc_u32 s5, s15, s31
	s_load_dword s4, s[4:5], 0x0
	s_mul_hi_u32 s5, s36, s2
	s_mul_i32 s7, s37, s2
	s_add_i32 s3, s5, s3
	s_add_i32 s3, s3, s7
	s_waitcnt lgkmcnt(0)
	s_ashr_i32 s5, s4, 31
	s_mul_i32 s2, s36, s2
	s_ashr_i32 s7, s6, 31
	s_add_u32 s46, s2, s6
	s_addc_u32 s47, s3, s7
	s_mul_i32 s2, s8, s47
	s_mul_hi_u32 s3, s8, s46
	s_add_i32 s2, s3, s2
	s_mul_i32 s3, s9, s46
	s_add_i32 s3, s2, s3
	s_mul_i32 s2, s8, s46
	s_lshl_b64 s[2:3], s[2:3], 2
	s_add_u32 s6, s16, s2
	s_addc_u32 s7, s17, s3
	s_mul_i32 s2, s10, s47
	s_mul_hi_u32 s3, s10, s46
	s_add_i32 s2, s3, s2
	s_mul_i32 s3, s11, s46
	s_add_i32 s3, s2, s3
	s_mul_i32 s2, s10, s46
	s_lshl_b64 s[2:3], s[2:3], 2
	s_add_u32 s14, s18, s2
	s_addc_u32 s15, s19, s3
	s_load_dword s16, s[14:15], 0x0
	s_load_dword s33, s[6:7], 0x0
	v_addc_co_u32_e32 v13, vcc, v1, v2, vcc
	v_cmp_gt_i64_e64 s[30:31], s[10:11], 1
	s_mov_b64 s[0:1], -1
	s_waitcnt lgkmcnt(0)
	s_ashr_i32 s17, s16, 31
	s_and_b64 vcc, exec, s[28:29]
	s_cbranch_vccnz .LBB0_7
; %bb.2:
	v_mov_b32_e32 v2, s5
	v_add_co_u32_e32 v5, vcc, s4, v12
	v_addc_co_u32_e32 v6, vcc, v13, v2, vcc
	v_cmp_ge_i64_e32 vcc, s[16:17], v[5:6]
	v_mov_b32_e32 v2, 1
	v_mov_b32_e32 v9, s16
	;; [unrolled: 1-line block ×3, first 2 shown]
	s_and_b64 s[0:1], vcc, s[30:31]
	v_mov_b32_e32 v10, s17
	s_and_saveexec_b64 s[30:31], s[0:1]
	s_cbranch_execz .LBB0_6
; %bb.3:
	s_add_u32 s0, s18, s2
	s_addc_u32 s1, s19, s3
	s_add_u32 s34, s0, 4
	v_mov_b32_e32 v7, s10
	s_addc_u32 s35, s1, 0
	s_mov_b64 s[44:45], 1
	s_mov_b64 s[36:37], 0
	v_mov_b32_e32 v8, s11
.LBB0_4:                                ; =>This Inner Loop Header: Depth=1
	s_load_dword s48, s[34:35], 0x0
	s_add_u32 s44, s44, 1
	s_addc_u32 s45, s45, 0
	v_cmp_ge_i64_e32 vcc, s[44:45], v[7:8]
	v_mov_b32_e32 v2, s44
	s_waitcnt lgkmcnt(0)
	s_ashr_i32 s49, s48, 31
	v_cmp_lt_i64_e64 s[0:1], s[48:49], v[5:6]
	v_mov_b32_e32 v9, s48
	s_or_b64 s[0:1], s[0:1], vcc
	s_add_u32 s34, s34, 4
	s_addc_u32 s35, s35, 0
	s_and_b64 s[0:1], exec, s[0:1]
	v_mov_b32_e32 v3, s45
	s_or_b64 s[36:37], s[0:1], s[36:37]
	v_mov_b32_e32 v10, s49
	s_andn2_b64 exec, exec, s[36:37]
	s_cbranch_execnz .LBB0_4
; %bb.5:
	s_or_b64 exec, exec, s[36:37]
.LBB0_6:
	s_or_b64 exec, exec, s[30:31]
	v_sub_co_u32_e32 v8, vcc, v5, v9
	v_cmp_ge_i64_e64 s[30:31], v[5:6], v[9:10]
	v_subb_co_u32_e32 v9, vcc, v6, v10, vcc
	v_mov_b32_e32 v5, 0
	s_branch .LBB0_13
.LBB0_7:
                                        ; implicit-def: $sgpr30_sgpr31
                                        ; implicit-def: $vgpr2_vgpr3
                                        ; implicit-def: $vgpr8_vgpr9
	v_mov_b32_e32 v5, 0
	s_and_b64 vcc, exec, s[0:1]
	s_cbranch_vccz .LBB0_13
; %bb.8:
	s_sub_u32 s0, s4, s12
	s_subb_u32 s1, s5, s13
	v_mov_b32_e32 v2, s1
	v_add_co_u32_e32 v6, vcc, s0, v12
	v_addc_co_u32_e32 v7, vcc, v13, v2, vcc
	v_cmp_ge_i64_e32 vcc, s[16:17], v[6:7]
	v_cmp_gt_i64_e64 s[0:1], s[10:11], 1
	v_mov_b32_e32 v2, 1
	v_mov_b32_e32 v10, s16
	;; [unrolled: 1-line block ×3, first 2 shown]
	s_and_b64 s[0:1], vcc, s[0:1]
	v_mov_b32_e32 v11, s17
	s_and_saveexec_b64 s[16:17], s[0:1]
	s_cbranch_execz .LBB0_12
; %bb.9:
	s_add_u32 s0, s18, s2
	s_addc_u32 s1, s19, s3
	s_add_u32 s2, s0, 4
	v_mov_b32_e32 v8, s10
	s_addc_u32 s3, s1, 0
	s_mov_b64 s[30:31], 1
	s_mov_b64 s[18:19], 0
	v_mov_b32_e32 v9, s11
.LBB0_10:                               ; =>This Inner Loop Header: Depth=1
	s_load_dword s34, s[2:3], 0x0
	s_add_u32 s30, s30, 1
	s_addc_u32 s31, s31, 0
	v_cmp_ge_i64_e32 vcc, s[30:31], v[8:9]
	v_mov_b32_e32 v2, s30
	s_waitcnt lgkmcnt(0)
	s_ashr_i32 s35, s34, 31
	v_cmp_lt_i64_e64 s[0:1], s[34:35], v[6:7]
	v_mov_b32_e32 v10, s34
	s_or_b64 s[0:1], s[0:1], vcc
	s_add_u32 s2, s2, 4
	s_addc_u32 s3, s3, 0
	s_and_b64 s[0:1], exec, s[0:1]
	v_mov_b32_e32 v3, s31
	s_or_b64 s[18:19], s[0:1], s[18:19]
	v_mov_b32_e32 v11, s35
	s_andn2_b64 exec, exec, s[18:19]
	s_cbranch_execnz .LBB0_10
; %bb.11:
	s_or_b64 exec, exec, s[18:19]
.LBB0_12:
	s_or_b64 exec, exec, s[16:17]
	v_sub_co_u32_e32 v8, vcc, v6, v10
	v_cmp_ge_i64_e64 s[30:31], v[6:7], v[10:11]
	v_subb_co_u32_e32 v9, vcc, v7, v11, vcc
.LBB0_13:
	v_cmp_lt_i64_e32 vcc, s[40:41], v[8:9]
	v_mov_b32_e32 v6, s41
	v_cndmask_b32_e32 v9, v6, v9, vcc
	v_mov_b32_e32 v6, s40
	v_cndmask_b32_e32 v8, v6, v8, vcc
	v_mov_b32_e32 v7, s41
	v_subrev_co_u32_e32 v6, vcc, s40, v8
	v_mov_b32_e32 v11, v9
	s_xor_b64 s[16:17], s[28:29], -1
	s_mov_b64 s[2:3], -1
	s_xor_b64 s[18:19], s[30:31], -1
	v_subb_co_u32_e32 v7, vcc, v9, v7, vcc
	v_mov_b32_e32 v10, v8
	s_and_saveexec_b64 s[0:1], s[18:19]
	s_cbranch_execz .LBB0_18
; %bb.14:
	s_and_b64 vcc, exec, s[16:17]
                                        ; implicit-def: $sgpr18_sgpr19
	s_cbranch_vccz .LBB0_16
; %bb.15:
	s_add_u32 s18, s42, s4
	s_addc_u32 s19, s43, s5
	s_mov_b64 s[2:3], 0
.LBB0_16:
	v_mov_b32_e32 v10, s18
	v_mov_b32_e32 v7, s5
	s_andn2_b64 vcc, exec, s[2:3]
	v_mov_b32_e32 v11, s19
	v_mov_b32_e32 v6, s4
	s_cbranch_vccnz .LBB0_18
; %bb.17:
	s_sub_u32 s2, s4, s12
	s_subb_u32 s3, s5, s13
	v_mov_b32_e32 v7, s3
	v_add_co_u32_e32 v6, vcc, s2, v12
	v_addc_co_u32_e32 v7, vcc, v13, v7, vcc
	v_mov_b32_e32 v11, s43
	v_add_co_u32_e32 v10, vcc, s42, v6
	v_addc_co_u32_e32 v11, vcc, v7, v11, vcc
.LBB0_18:
	s_or_b64 exec, exec, s[0:1]
	v_mov_b32_e32 v14, s38
	v_mad_u64_u32 v[4:5], s[0:1], s46, v14, v[4:5]
	s_mul_i32 s47, s47, s38
	s_mul_i32 s0, s46, s39
	s_add_i32 s0, s0, s47
	v_add_u32_e32 v5, s0, v5
	v_mul_lo_u32 v16, v5, s8
	v_mul_lo_u32 v17, v4, s9
	v_mad_u64_u32 v[14:15], s[0:1], v4, s8, 0
	s_add_u32 s18, s42, s4
	s_addc_u32 s19, s43, s5
	v_add3_u32 v15, v15, v17, v16
	v_lshlrev_b64 v[14:15], 2, v[14:15]
	v_mov_b32_e32 v16, s27
	v_add_co_u32_e32 v36, vcc, s26, v14
	s_sub_u32 s0, s4, s12
	v_addc_co_u32_e32 v37, vcc, v16, v15, vcc
	s_subb_u32 s1, s5, s13
	v_mov_b32_e32 v14, s1
	v_add_co_u32_e32 v16, vcc, s0, v12
	v_addc_co_u32_e32 v17, vcc, v13, v14, vcc
	v_mov_b32_e32 v14, s43
	v_add_co_u32_e32 v18, vcc, s42, v16
	v_addc_co_u32_e32 v19, vcc, v17, v14, vcc
	v_mov_b32_e32 v14, s5
	v_add_co_u32_e32 v40, vcc, s4, v12
	s_and_b64 s[0:1], exec, s[28:29]
	v_addc_co_u32_e32 v41, vcc, v13, v14, vcc
	s_cselect_b32 s0, s13, 0
	s_cselect_b32 s1, s12, 0
	v_mov_b32_e32 v14, s0
	v_subrev_co_u32_e32 v15, vcc, s1, v12
	v_subb_co_u32_e32 v14, vcc, v13, v14, vcc
	v_mul_lo_u32 v22, s10, v5
	v_mul_lo_u32 v23, s11, v4
	v_mad_u64_u32 v[12:13], s[0:1], s10, v4, 0
	v_mov_b32_e32 v21, s19
	v_add_co_u32_e32 v20, vcc, s18, v15
	v_add3_u32 v13, v13, v22, v23
	v_lshlrev_b64 v[12:13], 2, v[12:13]
	v_addc_co_u32_e32 v21, vcc, v21, v14, vcc
	v_mov_b32_e32 v14, s23
	v_add_co_u32_e32 v38, vcc, s22, v12
	v_addc_co_u32_e32 v39, vcc, v14, v13, vcc
	v_mov_b32_e32 v34, 0
	v_mov_b32_e32 v12, 0
	s_mov_b64 s[26:27], 0
	s_mov_b64 s[30:31], 1
	;; [unrolled: 1-line block ×3, first 2 shown]
	v_mov_b32_e32 v24, s33
	v_mov_b32_e32 v35, 0
	;; [unrolled: 1-line block ×4, first 2 shown]
	s_branch .LBB0_20
.LBB0_19:                               ;   in Loop: Header=BB0_20 Depth=1
	s_or_b64 exec, exec, s[2:3]
	s_and_b64 s[2:3], exec, s[36:37]
	v_mov_b32_e32 v25, s30
	s_or_b64 s[22:23], s[2:3], s[22:23]
	v_mov_b32_e32 v26, s31
	s_mov_b64 s[30:31], s[0:1]
	s_andn2_b64 exec, exec, s[22:23]
	s_cbranch_execz .LBB0_70
.LBB0_20:                               ; =>This Loop Header: Depth=1
                                        ;     Child Loop BB0_23 Depth 2
                                        ;       Child Loop BB0_31 Depth 3
                                        ;         Child Loop BB0_41 Depth 4
                                        ;         Child Loop BB0_64 Depth 4
	v_mov_b32_e32 v15, s9
	v_mov_b32_e32 v14, s8
	s_cmp_eq_u64 s[30:31], s[8:9]
	v_cmp_lt_i64_e64 s[0:1], s[30:31], v[14:15]
	s_waitcnt vmcnt(0)
	v_ashrrev_i32_e32 v25, 31, v24
	s_cselect_b64 s[36:37], -1, 0
	s_mov_b64 s[38:39], 0
	s_mov_b64 s[44:45], s[26:27]
                                        ; implicit-def: $sgpr34_sgpr35
	s_branch .LBB0_23
.LBB0_21:                               ;   in Loop: Header=BB0_23 Depth=2
	s_or_b64 exec, exec, s[48:49]
	s_andn2_b64 s[44:45], s[44:45], exec
	s_and_b64 s[46:47], s[46:47], exec
	v_mov_b32_e32 v12, v24
	v_mov_b32_e32 v2, v32
	;; [unrolled: 1-line block ×5, first 2 shown]
	s_xor_b64 s[52:53], exec, -1
	s_or_b64 s[44:45], s[44:45], s[46:47]
	s_orn2_b64 s[50:51], s[0:1], exec
	v_mov_b32_e32 v13, v25
	v_mov_b32_e32 v3, v33
	v_mov_b32_e32 v9, v31
	v_mov_b32_e32 v7, v27
	v_mov_b32_e32 v11, v29
.LBB0_22:                               ;   in Loop: Header=BB0_23 Depth=2
	s_or_b64 exec, exec, s[2:3]
	s_xor_b64 s[2:3], s[52:53], -1
	s_and_b64 s[46:47], exec, s[50:51]
	s_or_b64 s[38:39], s[46:47], s[38:39]
	s_andn2_b64 s[26:27], s[26:27], exec
	s_and_b64 s[46:47], s[44:45], exec
	s_andn2_b64 s[34:35], s[34:35], exec
	s_and_b64 s[2:3], s[2:3], exec
	v_mov_b32_e32 v25, v21
	s_or_b64 s[26:27], s[26:27], s[46:47]
	s_or_b64 s[34:35], s[34:35], s[2:3]
	v_mov_b32_e32 v24, v20
	s_andn2_b64 exec, exec, s[38:39]
	s_cbranch_execz .LBB0_68
.LBB0_23:                               ;   Parent Loop BB0_20 Depth=1
                                        ; =>  This Loop Header: Depth=2
                                        ;       Child Loop BB0_31 Depth 3
                                        ;         Child Loop BB0_41 Depth 4
                                        ;         Child Loop BB0_64 Depth 4
	v_mov_b32_e32 v22, v24
	v_mov_b32_e32 v23, v25
	;; [unrolled: 1-line block ×3, first 2 shown]
	s_andn2_b64 s[2:3], s[0:1], exec
	s_and_b64 s[46:47], s[44:45], exec
	v_mov_b32_e32 v25, v13
	v_mov_b32_e32 v33, v3
	;; [unrolled: 1-line block ×6, first 2 shown]
	s_mov_b64 s[50:51], 0
	s_or_b64 s[60:61], s[2:3], s[46:47]
	v_mov_b32_e32 v24, v12
	v_mov_b32_e32 v32, v2
	;; [unrolled: 1-line block ×5, first 2 shown]
                                        ; implicit-def: $sgpr52_sgpr53
                                        ; implicit-def: $sgpr46_sgpr47
                                        ; implicit-def: $sgpr48_sgpr49
                                        ; implicit-def: $sgpr54_sgpr55
                                        ; implicit-def: $sgpr58_sgpr59
                                        ; implicit-def: $sgpr56_sgpr57
                                        ; implicit-def: $sgpr62_sgpr63
	s_branch .LBB0_31
.LBB0_24:                               ;   in Loop: Header=BB0_31 Depth=3
	s_or_b64 exec, exec, s[84:85]
.LBB0_25:                               ;   in Loop: Header=BB0_31 Depth=3
	s_or_b64 exec, exec, s[82:83]
.LBB0_26:                               ;   in Loop: Header=BB0_31 Depth=3
	s_or_b64 exec, exec, s[80:81]
	v_mov_b32_e32 v27, s41
	v_subrev_co_u32_e32 v26, vcc, s40, v30
	v_mov_b32_e32 v28, v30
	v_subb_co_u32_e32 v27, vcc, v31, v27, vcc
	v_mov_b32_e32 v29, v31
.LBB0_27:                               ;   in Loop: Header=BB0_31 Depth=3
	s_or_b64 exec, exec, s[78:79]
.LBB0_28:                               ;   in Loop: Header=BB0_31 Depth=3
	s_or_b64 exec, exec, s[76:77]
	s_andn2_b64 s[2:3], s[72:73], exec
	s_and_b64 s[66:67], s[66:67], exec
	s_or_b64 s[72:73], s[2:3], s[66:67]
	s_andn2_b64 s[2:3], s[70:71], exec
	s_or_b64 s[70:71], s[2:3], s[66:67]
	s_xor_b64 s[76:77], exec, -1
.LBB0_29:                               ;   in Loop: Header=BB0_31 Depth=3
	s_or_b64 exec, exec, s[74:75]
	s_andn2_b64 s[2:3], s[62:63], exec
	s_and_b64 s[62:63], s[72:73], exec
	s_or_b64 s[62:63], s[2:3], s[62:63]
	s_andn2_b64 s[2:3], s[56:57], exec
	s_and_b64 s[56:57], s[68:69], exec
	s_or_b64 s[56:57], s[2:3], s[56:57]
	;; [unrolled: 3-line block ×4, first 2 shown]
.LBB0_30:                               ;   in Loop: Header=BB0_31 Depth=3
	s_or_b64 exec, exec, s[64:65]
	s_and_b64 s[2:3], exec, s[54:55]
	s_or_b64 s[50:51], s[2:3], s[50:51]
	s_andn2_b64 s[2:3], s[60:61], exec
	s_and_b64 s[64:65], s[62:63], exec
	s_or_b64 s[2:3], s[2:3], s[64:65]
	s_andn2_b64 s[48:49], s[48:49], exec
	s_and_b64 s[64:65], s[56:57], exec
	;; [unrolled: 3-line block ×3, first 2 shown]
	s_andn2_b64 s[52:53], s[52:53], exec
	s_and_b64 s[60:61], s[60:61], exec
	s_or_b64 s[46:47], s[46:47], s[64:65]
	s_or_b64 s[52:53], s[52:53], s[60:61]
	s_mov_b64 s[60:61], s[2:3]
	s_andn2_b64 exec, exec, s[50:51]
	s_cbranch_execz .LBB0_65
.LBB0_31:                               ;   Parent Loop BB0_20 Depth=1
                                        ;     Parent Loop BB0_23 Depth=2
                                        ; =>    This Loop Header: Depth=3
                                        ;         Child Loop BB0_41 Depth 4
                                        ;         Child Loop BB0_64 Depth 4
	v_mov_b32_e32 v10, v28
	v_mov_b32_e32 v11, v29
	s_andn2_b64 s[2:3], s[62:63], exec
	s_and_b64 s[64:65], s[60:61], exec
	v_mov_b32_e32 v6, v26
	v_mov_b32_e32 v8, v30
	v_mov_b32_e32 v2, v32
	v_mov_b32_e32 v12, v24
	v_cmp_ge_i64_e32 vcc, v[22:23], v[10:11]
	s_or_b64 s[62:63], s[2:3], s[64:65]
	s_andn2_b64 s[2:3], s[58:59], exec
	v_mov_b32_e32 v7, v27
	v_mov_b32_e32 v9, v31
	;; [unrolled: 1-line block ×4, first 2 shown]
	s_or_b64 s[56:57], s[56:57], exec
	s_or_b64 s[58:59], s[2:3], s[64:65]
	s_or_b64 s[54:55], s[54:55], exec
	s_and_saveexec_b64 s[64:65], vcc
	s_cbranch_execz .LBB0_30
; %bb.32:                               ;   in Loop: Header=BB0_31 Depth=3
	v_cmp_le_i64_e32 vcc, s[10:11], v[2:3]
	s_mov_b64 s[68:69], -1
	s_or_b64 s[74:75], s[16:17], vcc
	s_mov_b64 s[76:77], 0
	s_mov_b64 s[2:3], 0
                                        ; implicit-def: $sgpr66_sgpr67
                                        ; implicit-def: $sgpr70_sgpr71
                                        ; implicit-def: $sgpr72_sgpr73
                                        ; implicit-def: $vgpr28_vgpr29
                                        ; implicit-def: $vgpr26_vgpr27
                                        ; implicit-def: $vgpr24_vgpr25
                                        ; implicit-def: $vgpr34_vgpr35
	s_and_saveexec_b64 s[78:79], s[74:75]
	s_xor_b64 s[74:75], exec, s[78:79]
	s_cbranch_execz .LBB0_48
; %bb.33:                               ;   in Loop: Header=BB0_31 Depth=3
	v_cmp_le_i64_e32 vcc, s[10:11], v[2:3]
	s_mov_b64 s[70:71], 0
	s_or_b64 s[76:77], s[28:29], vcc
	s_xor_b64 s[68:69], s[76:77], -1
                                        ; implicit-def: $vgpr34_vgpr35
	s_and_saveexec_b64 s[66:67], s[68:69]
	s_cbranch_execz .LBB0_35
; %bb.34:                               ;   in Loop: Header=BB0_31 Depth=3
	v_lshlrev_b64 v[24:25], 2, v[2:3]
	v_mov_b32_e32 v26, s15
	v_add_co_u32_e32 v24, vcc, s14, v24
	v_addc_co_u32_e32 v25, vcc, v26, v25, vcc
	global_load_dword v34, v[24:25], off
	s_andn2_b64 s[68:69], s[76:77], exec
	s_mov_b64 s[70:71], exec
	s_waitcnt vmcnt(0)
	v_ashrrev_i32_e32 v35, 31, v34
	v_cmp_gt_i64_e32 vcc, v[0:1], v[34:35]
	s_and_b64 s[72:73], vcc, exec
	s_or_b64 s[76:77], s[68:69], s[72:73]
.LBB0_35:                               ;   in Loop: Header=BB0_31 Depth=3
	s_or_b64 exec, exec, s[66:67]
	s_mov_b64 s[72:73], -1
                                        ; implicit-def: $sgpr66_sgpr67
                                        ; implicit-def: $vgpr28_vgpr29
                                        ; implicit-def: $vgpr26_vgpr27
                                        ; implicit-def: $vgpr24_vgpr25
	s_and_saveexec_b64 s[68:69], s[76:77]
	s_cbranch_execz .LBB0_47
; %bb.36:                               ;   in Loop: Header=BB0_31 Depth=3
	v_cmp_gt_i64_e32 vcc, v[22:23], v[6:7]
	v_mov_b32_e32 v29, v11
	s_and_b64 s[66:67], s[28:29], vcc
	v_mov_b32_e32 v27, v7
	v_mov_b32_e32 v25, v13
	s_nor_b64 s[72:73], s[36:37], s[66:67]
	s_mov_b64 s[66:67], s[60:61]
	v_mov_b32_e32 v28, v10
	v_mov_b32_e32 v26, v6
	;; [unrolled: 1-line block ×3, first 2 shown]
	s_and_saveexec_b64 s[76:77], s[72:73]
	s_xor_b64 s[72:73], exec, s[76:77]
	s_cbranch_execz .LBB0_46
; %bb.37:                               ;   in Loop: Header=BB0_31 Depth=3
	v_mov_b32_e32 v29, v19
	v_mov_b32_e32 v27, v17
	;; [unrolled: 1-line block ×3, first 2 shown]
	s_andn2_b64 vcc, exec, s[16:17]
	v_mov_b32_e32 v28, v18
	v_mov_b32_e32 v26, v16
	;; [unrolled: 1-line block ×3, first 2 shown]
	s_cbranch_vccnz .LBB0_45
; %bb.38:                               ;   in Loop: Header=BB0_31 Depth=3
	v_cmp_gt_i64_e32 vcc, s[4:5], v[6:7]
	v_mov_b32_e32 v25, v13
	v_mov_b32_e32 v24, v12
	s_and_saveexec_b64 s[66:67], vcc
	s_cbranch_execz .LBB0_44
; %bb.39:                               ;   in Loop: Header=BB0_31 Depth=3
	v_cmp_gt_i64_e32 vcc, s[4:5], v[10:11]
	v_mov_b32_e32 v24, s5
	v_cndmask_b32_e32 v27, v24, v11, vcc
	v_mov_b32_e32 v24, s4
	v_cndmask_b32_e32 v26, v24, v10, vcc
	v_ashrrev_i32_e32 v29, 31, v6
	v_mov_b32_e32 v28, v6
	v_cmp_lt_i64_e32 vcc, v[28:29], v[26:27]
	v_mov_b32_e32 v25, v13
	v_mov_b32_e32 v24, v12
	s_and_saveexec_b64 s[76:77], vcc
	s_cbranch_execz .LBB0_43
; %bb.40:                               ;   in Loop: Header=BB0_31 Depth=3
	v_lshlrev_b64 v[24:25], 2, v[12:13]
	v_mov_b32_e32 v33, v7
	v_add_co_u32_e32 v30, vcc, v38, v24
	v_addc_co_u32_e32 v31, vcc, v39, v25, vcc
	v_mov_b32_e32 v25, v13
	s_mov_b64 s[78:79], 0
	v_mov_b32_e32 v32, v6
	v_mov_b32_e32 v24, v12
.LBB0_41:                               ;   Parent Loop BB0_20 Depth=1
                                        ;     Parent Loop BB0_23 Depth=2
                                        ;       Parent Loop BB0_31 Depth=3
                                        ; =>      This Inner Loop Header: Depth=4
	v_add_co_u32_e32 v24, vcc, 1, v24
	v_addc_co_u32_e32 v25, vcc, 0, v25, vcc
	v_add_co_u32_e32 v28, vcc, s42, v28
	v_ashrrev_i32_e32 v29, 31, v28
	v_cmp_ge_i64_e64 s[2:3], v[28:29], v[26:27]
	global_store_dword v[30:31], v32, off
	v_add_co_u32_e32 v30, vcc, 4, v30
	v_mov_b32_e32 v33, v29
	v_addc_co_u32_e32 v31, vcc, 0, v31, vcc
	s_or_b64 s[78:79], s[2:3], s[78:79]
	v_mov_b32_e32 v32, v28
	s_andn2_b64 exec, exec, s[78:79]
	s_cbranch_execnz .LBB0_41
; %bb.42:                               ;   in Loop: Header=BB0_31 Depth=3
	s_or_b64 exec, exec, s[78:79]
.LBB0_43:                               ;   in Loop: Header=BB0_31 Depth=3
	s_or_b64 exec, exec, s[76:77]
.LBB0_44:                               ;   in Loop: Header=BB0_31 Depth=3
	s_or_b64 exec, exec, s[66:67]
	v_mov_b32_e32 v29, s19
	v_mov_b32_e32 v27, s5
	;; [unrolled: 1-line block ×4, first 2 shown]
.LBB0_45:                               ;   in Loop: Header=BB0_31 Depth=3
	s_mov_b64 s[2:3], exec
	s_or_b64 s[66:67], s[60:61], exec
.LBB0_46:                               ;   in Loop: Header=BB0_31 Depth=3
	s_or_b64 exec, exec, s[72:73]
	s_xor_b64 s[72:73], exec, -1
	s_and_b64 s[2:3], s[2:3], exec
	s_andn2_b64 s[70:71], s[70:71], exec
.LBB0_47:                               ;   in Loop: Header=BB0_31 Depth=3
	s_or_b64 exec, exec, s[68:69]
	s_orn2_b64 s[68:69], s[72:73], exec
	s_and_b64 s[2:3], s[2:3], exec
	s_and_b64 s[76:77], s[70:71], exec
	s_mov_b64 s[70:71], s[66:67]
	s_mov_b64 s[72:73], s[66:67]
.LBB0_48:                               ;   in Loop: Header=BB0_31 Depth=3
	s_andn2_saveexec_b64 s[74:75], s[74:75]
	s_cbranch_execz .LBB0_50
; %bb.49:                               ;   in Loop: Header=BB0_31 Depth=3
	v_lshlrev_b64 v[30:31], 2, v[2:3]
	v_mov_b32_e32 v32, s15
	v_add_co_u32_e32 v30, vcc, s14, v30
	v_addc_co_u32_e32 v31, vcc, v32, v31, vcc
	global_load_dword v34, v[30:31], off
	s_or_b64 s[76:77], s[76:77], exec
	s_waitcnt vmcnt(0)
	v_ashrrev_i32_e32 v35, 31, v34
.LBB0_50:                               ;   in Loop: Header=BB0_31 Depth=3
	s_or_b64 exec, exec, s[74:75]
	v_mov_b32_e32 v31, v9
	v_mov_b32_e32 v33, v3
	v_mov_b32_e32 v30, v8
	v_mov_b32_e32 v32, v2
	s_and_saveexec_b64 s[74:75], s[76:77]
	s_cbranch_execz .LBB0_56
; %bb.51:                               ;   in Loop: Header=BB0_31 Depth=3
	s_mov_b64 s[76:77], -1
	s_and_b64 vcc, exec, s[16:17]
                                        ; implicit-def: $vgpr30_vgpr31
	s_cbranch_vccz .LBB0_53
; %bb.52:                               ;   in Loop: Header=BB0_31 Depth=3
	v_sub_co_u32_e32 v24, vcc, v40, v34
	v_subb_co_u32_e32 v25, vcc, v41, v35, vcc
	v_cmp_lt_i64_e32 vcc, s[40:41], v[24:25]
	v_mov_b32_e32 v26, s41
	v_cndmask_b32_e32 v31, v26, v25, vcc
	v_mov_b32_e32 v25, s40
	v_cndmask_b32_e32 v30, v25, v24, vcc
	s_mov_b64 s[76:77], 0
.LBB0_53:                               ;   in Loop: Header=BB0_31 Depth=3
	s_andn2_b64 vcc, exec, s[76:77]
	s_cbranch_vccnz .LBB0_55
; %bb.54:                               ;   in Loop: Header=BB0_31 Depth=3
	v_mov_b32_e32 v24, s13
	v_add_co_u32_e32 v25, vcc, s12, v34
	v_addc_co_u32_e32 v26, vcc, v24, v35, vcc
	v_sub_co_u32_e32 v24, vcc, v40, v25
	v_subb_co_u32_e32 v25, vcc, v41, v26, vcc
	v_cmp_lt_i64_e32 vcc, s[40:41], v[24:25]
	v_mov_b32_e32 v26, s41
	v_cndmask_b32_e32 v31, v26, v25, vcc
	v_mov_b32_e32 v25, s40
	v_cndmask_b32_e32 v30, v25, v24, vcc
.LBB0_55:                               ;   in Loop: Header=BB0_31 Depth=3
	v_add_co_u32_e32 v32, vcc, 1, v2
	s_andn2_b64 s[72:73], s[72:73], exec
	s_and_b64 s[76:77], s[60:61], exec
	s_andn2_b64 s[70:71], s[70:71], exec
	s_andn2_b64 s[66:67], s[66:67], exec
	v_mov_b32_e32 v29, v11
	v_mov_b32_e32 v27, v7
	;; [unrolled: 1-line block ×3, first 2 shown]
	v_addc_co_u32_e32 v33, vcc, 0, v3, vcc
	s_or_b64 s[72:73], s[72:73], s[76:77]
	s_or_b64 s[70:71], s[70:71], s[76:77]
	;; [unrolled: 1-line block ×3, first 2 shown]
	s_or_b64 s[2:3], s[2:3], exec
	v_mov_b32_e32 v28, v10
	v_mov_b32_e32 v26, v6
	;; [unrolled: 1-line block ×3, first 2 shown]
.LBB0_56:                               ;   in Loop: Header=BB0_31 Depth=3
	s_or_b64 exec, exec, s[74:75]
	s_mov_b64 s[76:77], -1
	s_and_saveexec_b64 s[74:75], s[2:3]
	s_cbranch_execz .LBB0_29
; %bb.57:                               ;   in Loop: Header=BB0_31 Depth=3
	s_xor_b64 s[2:3], s[66:67], -1
	s_and_saveexec_b64 s[76:77], s[2:3]
	s_xor_b64 s[76:77], exec, s[76:77]
	s_cbranch_execz .LBB0_28
; %bb.58:                               ;   in Loop: Header=BB0_31 Depth=3
	v_mov_b32_e32 v35, s41
	v_add_co_u32_e32 v34, vcc, s40, v28
	v_addc_co_u32_e32 v35, vcc, v29, v35, vcc
	v_cmp_le_i64_e32 vcc, v[30:31], v[34:35]
	s_and_saveexec_b64 s[2:3], vcc
	s_xor_b64 s[2:3], exec, s[2:3]
; %bb.59:                               ;   in Loop: Header=BB0_31 Depth=3
	v_cmp_gt_i64_e32 vcc, v[30:31], v[28:29]
	v_cndmask_b32_e32 v29, v29, v35, vcc
	v_cndmask_b32_e32 v28, v28, v34, vcc
; %bb.60:                               ;   in Loop: Header=BB0_31 Depth=3
	s_andn2_saveexec_b64 s[78:79], s[2:3]
	s_cbranch_execz .LBB0_27
; %bb.61:                               ;   in Loop: Header=BB0_31 Depth=3
	v_cmp_gt_i64_e32 vcc, s[4:5], v[26:27]
	s_and_saveexec_b64 s[80:81], vcc
	s_cbranch_execz .LBB0_26
; %bb.62:                               ;   in Loop: Header=BB0_31 Depth=3
	v_cmp_gt_i64_e32 vcc, s[4:5], v[28:29]
	v_mov_b32_e32 v27, s5
	v_cndmask_b32_e32 v29, v27, v29, vcc
	v_mov_b32_e32 v27, s4
	v_cndmask_b32_e32 v28, v27, v28, vcc
	v_ashrrev_i32_e32 v27, 31, v26
	v_cmp_lt_i64_e32 vcc, v[26:27], v[28:29]
	s_and_saveexec_b64 s[82:83], vcc
	s_cbranch_execz .LBB0_25
; %bb.63:                               ;   in Loop: Header=BB0_31 Depth=3
	v_lshlrev_b64 v[34:35], 2, v[24:25]
	s_mov_b64 s[84:85], 0
	v_add_co_u32_e32 v34, vcc, v38, v34
	v_addc_co_u32_e32 v35, vcc, v39, v35, vcc
.LBB0_64:                               ;   Parent Loop BB0_20 Depth=1
                                        ;     Parent Loop BB0_23 Depth=2
                                        ;       Parent Loop BB0_31 Depth=3
                                        ; =>      This Inner Loop Header: Depth=4
	v_add_co_u32_e32 v24, vcc, 1, v24
	v_addc_co_u32_e32 v25, vcc, 0, v25, vcc
	global_store_dword v[34:35], v26, off
	v_add_co_u32_e32 v26, vcc, s42, v26
	v_ashrrev_i32_e32 v27, 31, v26
	v_cmp_ge_i64_e64 s[2:3], v[26:27], v[28:29]
	v_add_co_u32_e32 v34, vcc, 4, v34
	s_or_b64 s[84:85], s[2:3], s[84:85]
	v_addc_co_u32_e32 v35, vcc, 0, v35, vcc
	s_andn2_b64 exec, exec, s[84:85]
	s_cbranch_execnz .LBB0_64
	s_branch .LBB0_24
.LBB0_65:                               ;   in Loop: Header=BB0_23 Depth=2
	s_or_b64 exec, exec, s[50:51]
	s_andn2_b64 s[2:3], s[44:45], exec
	s_and_b64 s[44:45], s[52:53], exec
	s_mov_b64 s[50:51], -1
	s_or_b64 s[44:45], s[2:3], s[44:45]
	s_mov_b64 s[52:53], -1
                                        ; implicit-def: $vgpr34_vgpr35
	s_and_saveexec_b64 s[2:3], s[48:49]
	s_xor_b64 s[2:3], exec, s[2:3]
	s_cbranch_execz .LBB0_22
; %bb.66:                               ;   in Loop: Header=BB0_23 Depth=2
	v_cmp_lt_i64_e32 vcc, v[22:23], v[26:27]
	v_mov_b32_e32 v35, v15
	v_mov_b32_e32 v34, v14
	s_and_saveexec_b64 s[48:49], vcc
	s_cbranch_execz .LBB0_21
; %bb.67:                               ;   in Loop: Header=BB0_23 Depth=2
	v_lshlrev_b64 v[2:3], 2, v[14:15]
	v_add_co_u32_e32 v2, vcc, v36, v2
	v_addc_co_u32_e32 v3, vcc, v37, v3, vcc
	v_add_co_u32_e32 v34, vcc, 1, v14
	v_addc_co_u32_e32 v35, vcc, 0, v15, vcc
	global_store_dword v[2:3], v22, off
	s_branch .LBB0_21
.LBB0_68:                               ;   in Loop: Header=BB0_20 Depth=1
	s_or_b64 exec, exec, s[38:39]
	s_mov_b64 s[36:37], -1
                                        ; implicit-def: $vgpr24
                                        ; implicit-def: $sgpr0_sgpr1
	s_and_saveexec_b64 s[2:3], s[34:35]
	s_xor_b64 s[2:3], exec, s[2:3]
	s_cbranch_execz .LBB0_19
; %bb.69:                               ;   in Loop: Header=BB0_20 Depth=1
	s_add_u32 s0, s30, 1
	s_addc_u32 s1, s31, 0
	s_lshl_b64 s[34:35], s[30:31], 2
	s_add_u32 s34, s6, s34
	s_addc_u32 s35, s7, s35
	global_load_dword v24, v42, s[34:35]
	s_xor_b64 s[36:37], exec, -1
	s_branch .LBB0_19
.LBB0_70:
	s_or_b64 exec, exec, s[22:23]
	v_cmp_eq_u64_e32 vcc, s[8:9], v[25:26]
	v_cmp_gt_i64_e64 s[0:1], s[4:5], v[22:23]
	s_and_b64 s[2:3], s[16:17], vcc
	s_and_b64 s[2:3], s[2:3], s[0:1]
	s_and_saveexec_b64 s[0:1], s[2:3]
	s_cbranch_execz .LBB0_72
; %bb.71:
	v_lshlrev_b64 v[0:1], 2, v[14:15]
	v_add_co_u32_e32 v0, vcc, v36, v0
	v_addc_co_u32_e32 v1, vcc, v37, v1, vcc
	v_add_co_u32_e32 v14, vcc, 1, v14
	global_store_dword v[0:1], v22, off
.LBB0_72:
	s_or_b64 exec, exec, s[0:1]
	v_cmp_gt_i64_e32 vcc, s[4:5], v[6:7]
	s_and_saveexec_b64 s[2:3], vcc
	s_cbranch_execz .LBB0_78
; %bb.73:
	v_cmp_gt_i64_e32 vcc, s[4:5], v[10:11]
	v_mov_b32_e32 v0, s5
	v_cndmask_b32_e32 v1, v0, v11, vcc
	v_mov_b32_e32 v0, s4
	v_cndmask_b32_e32 v0, v0, v10, vcc
	v_ashrrev_i32_e32 v7, 31, v6
	v_cmp_lt_i64_e32 vcc, v[6:7], v[0:1]
	s_and_saveexec_b64 s[4:5], vcc
	s_cbranch_execz .LBB0_77
; %bb.74:
	v_lshlrev_b64 v[2:3], 2, v[12:13]
	s_mov_b64 s[6:7], 0
	v_add_co_u32_e32 v2, vcc, v38, v2
	v_addc_co_u32_e32 v3, vcc, v39, v3, vcc
.LBB0_75:                               ; =>This Inner Loop Header: Depth=1
	v_add_co_u32_e32 v12, vcc, 1, v12
	v_addc_co_u32_e32 v13, vcc, 0, v13, vcc
	global_store_dword v[2:3], v6, off
	v_add_co_u32_e32 v6, vcc, s42, v6
	v_ashrrev_i32_e32 v7, 31, v6
	v_cmp_ge_i64_e64 s[0:1], v[6:7], v[0:1]
	v_add_co_u32_e32 v2, vcc, 4, v2
	s_or_b64 s[6:7], s[0:1], s[6:7]
	v_addc_co_u32_e32 v3, vcc, 0, v3, vcc
	s_andn2_b64 exec, exec, s[6:7]
	s_cbranch_execnz .LBB0_75
; %bb.76:
	s_or_b64 exec, exec, s[6:7]
.LBB0_77:
	s_or_b64 exec, exec, s[4:5]
.LBB0_78:
	s_or_b64 exec, exec, s[2:3]
	v_lshlrev_b64 v[0:1], 2, v[4:5]
	v_mov_b32_e32 v3, s21
	v_add_co_u32_e32 v2, vcc, s20, v0
	v_addc_co_u32_e32 v3, vcc, v3, v1, vcc
	v_mov_b32_e32 v4, s25
	v_add_co_u32_e32 v0, vcc, s24, v0
	v_addc_co_u32_e32 v1, vcc, v4, v1, vcc
	global_store_dword v[2:3], v12, off
	global_store_dword v[0:1], v14, off
.LBB0_79:
	s_endpgm
	.section	.rodata,"a",@progbits
	.p2align	6, 0x0
	.amdhsa_kernel _Z37convert_vertical_slash_indexes_kernelPKiS0_S0_S0_PiS1_S1_S1_llllllb
		.amdhsa_group_segment_fixed_size 0
		.amdhsa_private_segment_fixed_size 0
		.amdhsa_kernarg_size 376
		.amdhsa_user_sgpr_count 6
		.amdhsa_user_sgpr_private_segment_buffer 1
		.amdhsa_user_sgpr_dispatch_ptr 0
		.amdhsa_user_sgpr_queue_ptr 0
		.amdhsa_user_sgpr_kernarg_segment_ptr 1
		.amdhsa_user_sgpr_dispatch_id 0
		.amdhsa_user_sgpr_flat_scratch_init 0
		.amdhsa_user_sgpr_private_segment_size 0
		.amdhsa_uses_dynamic_stack 0
		.amdhsa_system_sgpr_private_segment_wavefront_offset 0
		.amdhsa_system_sgpr_workgroup_id_x 1
		.amdhsa_system_sgpr_workgroup_id_y 1
		.amdhsa_system_sgpr_workgroup_id_z 1
		.amdhsa_system_sgpr_workgroup_info 0
		.amdhsa_system_vgpr_workitem_id 0
		.amdhsa_next_free_vgpr 43
		.amdhsa_next_free_sgpr 86
		.amdhsa_reserve_vcc 1
		.amdhsa_reserve_flat_scratch 0
		.amdhsa_float_round_mode_32 0
		.amdhsa_float_round_mode_16_64 0
		.amdhsa_float_denorm_mode_32 3
		.amdhsa_float_denorm_mode_16_64 3
		.amdhsa_dx10_clamp 1
		.amdhsa_ieee_mode 1
		.amdhsa_fp16_overflow 0
		.amdhsa_exception_fp_ieee_invalid_op 0
		.amdhsa_exception_fp_denorm_src 0
		.amdhsa_exception_fp_ieee_div_zero 0
		.amdhsa_exception_fp_ieee_overflow 0
		.amdhsa_exception_fp_ieee_underflow 0
		.amdhsa_exception_fp_ieee_inexact 0
		.amdhsa_exception_int_div_zero 0
	.end_amdhsa_kernel
	.text
.Lfunc_end0:
	.size	_Z37convert_vertical_slash_indexes_kernelPKiS0_S0_S0_PiS1_S1_S1_llllllb, .Lfunc_end0-_Z37convert_vertical_slash_indexes_kernelPKiS0_S0_S0_PiS1_S1_S1_llllllb
                                        ; -- End function
	.set _Z37convert_vertical_slash_indexes_kernelPKiS0_S0_S0_PiS1_S1_S1_llllllb.num_vgpr, 43
	.set _Z37convert_vertical_slash_indexes_kernelPKiS0_S0_S0_PiS1_S1_S1_llllllb.num_agpr, 0
	.set _Z37convert_vertical_slash_indexes_kernelPKiS0_S0_S0_PiS1_S1_S1_llllllb.numbered_sgpr, 86
	.set _Z37convert_vertical_slash_indexes_kernelPKiS0_S0_S0_PiS1_S1_S1_llllllb.num_named_barrier, 0
	.set _Z37convert_vertical_slash_indexes_kernelPKiS0_S0_S0_PiS1_S1_S1_llllllb.private_seg_size, 0
	.set _Z37convert_vertical_slash_indexes_kernelPKiS0_S0_S0_PiS1_S1_S1_llllllb.uses_vcc, 1
	.set _Z37convert_vertical_slash_indexes_kernelPKiS0_S0_S0_PiS1_S1_S1_llllllb.uses_flat_scratch, 0
	.set _Z37convert_vertical_slash_indexes_kernelPKiS0_S0_S0_PiS1_S1_S1_llllllb.has_dyn_sized_stack, 0
	.set _Z37convert_vertical_slash_indexes_kernelPKiS0_S0_S0_PiS1_S1_S1_llllllb.has_recursion, 0
	.set _Z37convert_vertical_slash_indexes_kernelPKiS0_S0_S0_PiS1_S1_S1_llllllb.has_indirect_call, 0
	.section	.AMDGPU.csdata,"",@progbits
; Kernel info:
; codeLenInByte = 2940
; TotalNumSgprs: 90
; NumVgprs: 43
; ScratchSize: 0
; MemoryBound: 0
; FloatMode: 240
; IeeeMode: 1
; LDSByteSize: 0 bytes/workgroup (compile time only)
; SGPRBlocks: 11
; VGPRBlocks: 10
; NumSGPRsForWavesPerEU: 90
; NumVGPRsForWavesPerEU: 43
; Occupancy: 5
; WaveLimiterHint : 0
; COMPUTE_PGM_RSRC2:SCRATCH_EN: 0
; COMPUTE_PGM_RSRC2:USER_SGPR: 6
; COMPUTE_PGM_RSRC2:TRAP_HANDLER: 0
; COMPUTE_PGM_RSRC2:TGID_X_EN: 1
; COMPUTE_PGM_RSRC2:TGID_Y_EN: 1
; COMPUTE_PGM_RSRC2:TGID_Z_EN: 1
; COMPUTE_PGM_RSRC2:TIDIG_COMP_CNT: 0
	.text
	.protected	_Z47convert_vertical_slash_indexes_kernel_mergeheadPKiS0_S0_S0_S0_S0_PiS1_S1_S1_llllllb ; -- Begin function _Z47convert_vertical_slash_indexes_kernel_mergeheadPKiS0_S0_S0_S0_S0_PiS1_S1_S1_llllllb
	.globl	_Z47convert_vertical_slash_indexes_kernel_mergeheadPKiS0_S0_S0_S0_S0_PiS1_S1_S1_llllllb
	.p2align	8
	.type	_Z47convert_vertical_slash_indexes_kernel_mergeheadPKiS0_S0_S0_S0_S0_PiS1_S1_S1_llllllb,@function
_Z47convert_vertical_slash_indexes_kernel_mergeheadPKiS0_S0_S0_S0_S0_PiS1_S1_S1_llllllb: ; @_Z47convert_vertical_slash_indexes_kernel_mergeheadPKiS0_S0_S0_S0_S0_PiS1_S1_S1_llllllb
; %bb.0:
	s_mov_b32 s2, s7
	s_load_dwordx16 s[36:51], s[4:5], 0x0
	s_load_dwordx16 s[12:27], s[4:5], 0x40
	s_load_dword s7, s[4:5], 0x94
	s_ashr_i32 s3, s2, 31
	s_lshl_b64 s[28:29], s[2:3], 2
	s_waitcnt lgkmcnt(0)
	s_add_u32 s0, s36, s28
	s_addc_u32 s1, s37, s29
	s_and_b32 s7, s7, 0xffff
	s_mul_i32 s8, s8, s7
	v_add_u32_e32 v4, s8, v0
	v_mad_u64_u32 v[0:1], s[8:9], s20, v4, 0
	s_load_dword s8, s[0:1], 0x0
	v_mad_u64_u32 v[1:2], s[0:1], s21, v4, v[1:2]
	s_waitcnt lgkmcnt(0)
	s_ashr_i32 s9, s8, 31
	v_cmp_gt_i64_e32 vcc, s[8:9], v[0:1]
	s_and_saveexec_b64 s[0:1], vcc
	s_cbranch_execz .LBB1_79
; %bb.1:
	s_load_dword s4, s[4:5], 0x80
	s_mul_i32 s3, s16, s3
	s_mul_i32 s7, s17, s2
	v_mov_b32_e32 v2, s21
	v_add_co_u32_e32 v12, vcc, s20, v0
	s_waitcnt lgkmcnt(0)
	s_bitcmp1_b32 s4, 0
	s_cselect_b64 s[10:11], -1, 0
	s_add_u32 s4, s38, s28
	s_addc_u32 s5, s39, s29
	s_load_dword s4, s[4:5], 0x0
	s_mul_hi_u32 s5, s16, s2
	s_add_i32 s3, s5, s3
	s_add_i32 s3, s3, s7
	s_mul_i32 s2, s16, s2
	s_waitcnt lgkmcnt(0)
	s_ashr_i32 s5, s4, 31
	s_ashr_i32 s7, s6, 31
	s_add_u32 s31, s2, s6
	s_addc_u32 s52, s3, s7
	s_mul_i32 s2, s24, s52
	s_mul_hi_u32 s3, s24, s31
	s_add_i32 s2, s3, s2
	s_mul_i32 s3, s25, s31
	s_add_i32 s3, s2, s3
	s_mul_i32 s2, s24, s31
	s_lshl_b64 s[2:3], s[2:3], 2
	s_add_u32 s16, s40, s2
	s_addc_u32 s17, s41, s3
	s_mul_i32 s2, s26, s52
	s_mul_hi_u32 s3, s26, s31
	s_add_i32 s2, s3, s2
	s_mul_i32 s3, s27, s31
	s_add_i32 s3, s2, s3
	s_mul_i32 s2, s26, s31
	s_lshl_b64 s[2:3], s[2:3], 2
	s_add_u32 s28, s42, s2
	s_addc_u32 s29, s43, s3
	s_lshl_b64 s[36:37], s[6:7], 2
	s_add_u32 s6, s46, s36
	s_addc_u32 s7, s47, s37
	s_load_dword s6, s[6:7], 0x0
	v_addc_co_u32_e32 v13, vcc, v1, v2, vcc
	s_load_dword s34, s[28:29], 0x0
	s_mov_b64 s[0:1], -1
	s_waitcnt lgkmcnt(0)
	s_ashr_i32 s7, s6, 31
	s_add_u32 s36, s44, s36
	s_addc_u32 s37, s45, s37
	s_load_dword s30, s[36:37], 0x0
	s_load_dword s33, s[16:17], 0x0
	s_ashr_i32 s35, s34, 31
	s_and_b64 vcc, exec, s[10:11]
	s_cbranch_vccnz .LBB1_7
; %bb.2:
	v_mov_b32_e32 v2, s5
	v_add_co_u32_e32 v5, vcc, s4, v12
	v_addc_co_u32_e32 v6, vcc, v13, v2, vcc
	v_cmp_ge_i64_e32 vcc, s[34:35], v[5:6]
	s_cmp_gt_i32 s6, 1
	s_cselect_b64 s[0:1], -1, 0
	v_mov_b32_e32 v2, 1
	v_mov_b32_e32 v9, s34
	s_and_b64 s[0:1], vcc, s[0:1]
	v_mov_b32_e32 v3, 0
	v_mov_b32_e32 v10, s35
	s_and_saveexec_b64 s[36:37], s[0:1]
	s_cbranch_execz .LBB1_6
; %bb.3:
	s_add_u32 s0, s42, s2
	s_addc_u32 s1, s43, s3
	s_add_u32 s38, s0, 4
	v_mov_b32_e32 v8, s7
	s_addc_u32 s39, s1, 0
	s_mov_b64 s[44:45], 1
	s_mov_b64 s[40:41], 0
	v_mov_b32_e32 v7, s6
.LBB1_4:                                ; =>This Inner Loop Header: Depth=1
	s_load_dword s46, s[38:39], 0x0
	s_add_u32 s44, s44, 1
	s_addc_u32 s45, s45, 0
	v_cmp_ge_i64_e32 vcc, s[44:45], v[7:8]
	v_mov_b32_e32 v2, s44
	s_waitcnt lgkmcnt(0)
	s_ashr_i32 s47, s46, 31
	v_cmp_lt_i64_e64 s[0:1], s[46:47], v[5:6]
	v_mov_b32_e32 v9, s46
	s_or_b64 s[0:1], s[0:1], vcc
	s_add_u32 s38, s38, 4
	s_addc_u32 s39, s39, 0
	s_and_b64 s[0:1], exec, s[0:1]
	v_mov_b32_e32 v3, s45
	s_or_b64 s[40:41], s[0:1], s[40:41]
	v_mov_b32_e32 v10, s47
	s_andn2_b64 exec, exec, s[40:41]
	s_cbranch_execnz .LBB1_4
; %bb.5:
	s_or_b64 exec, exec, s[40:41]
.LBB1_6:
	s_or_b64 exec, exec, s[36:37]
	v_sub_co_u32_e32 v8, vcc, v5, v9
	v_cmp_ge_i64_e64 s[36:37], v[5:6], v[9:10]
	v_subb_co_u32_e32 v9, vcc, v6, v10, vcc
	v_mov_b32_e32 v5, 0
	s_branch .LBB1_13
.LBB1_7:
                                        ; implicit-def: $sgpr36_sgpr37
                                        ; implicit-def: $vgpr2_vgpr3
                                        ; implicit-def: $vgpr8_vgpr9
	v_mov_b32_e32 v5, 0
	s_and_b64 vcc, exec, s[0:1]
	s_cbranch_vccz .LBB1_13
; %bb.8:
	s_sub_u32 s0, s4, s8
	s_subb_u32 s1, s5, s9
	v_mov_b32_e32 v2, s1
	v_add_co_u32_e32 v6, vcc, s0, v12
	v_addc_co_u32_e32 v7, vcc, v13, v2, vcc
	v_cmp_ge_i64_e32 vcc, s[34:35], v[6:7]
	s_cmp_gt_i32 s6, 1
	s_cselect_b64 s[0:1], -1, 0
	v_mov_b32_e32 v2, 1
	v_mov_b32_e32 v10, s34
	s_and_b64 s[0:1], vcc, s[0:1]
	v_mov_b32_e32 v3, 0
	v_mov_b32_e32 v11, s35
	s_and_saveexec_b64 s[34:35], s[0:1]
	s_cbranch_execz .LBB1_12
; %bb.9:
	s_add_u32 s0, s42, s2
	s_addc_u32 s1, s43, s3
	s_add_u32 s2, s0, 4
	v_mov_b32_e32 v9, s7
	s_addc_u32 s3, s1, 0
	s_mov_b64 s[38:39], 1
	s_mov_b64 s[36:37], 0
	v_mov_b32_e32 v8, s6
.LBB1_10:                               ; =>This Inner Loop Header: Depth=1
	s_load_dword s40, s[2:3], 0x0
	s_add_u32 s38, s38, 1
	s_addc_u32 s39, s39, 0
	v_cmp_ge_i64_e32 vcc, s[38:39], v[8:9]
	v_mov_b32_e32 v2, s38
	s_waitcnt lgkmcnt(0)
	s_ashr_i32 s41, s40, 31
	v_cmp_lt_i64_e64 s[0:1], s[40:41], v[6:7]
	v_mov_b32_e32 v10, s40
	s_or_b64 s[0:1], s[0:1], vcc
	s_add_u32 s2, s2, 4
	s_addc_u32 s3, s3, 0
	s_and_b64 s[0:1], exec, s[0:1]
	v_mov_b32_e32 v3, s39
	s_or_b64 s[36:37], s[0:1], s[36:37]
	v_mov_b32_e32 v11, s41
	s_andn2_b64 exec, exec, s[36:37]
	s_cbranch_execnz .LBB1_10
; %bb.11:
	s_or_b64 exec, exec, s[36:37]
.LBB1_12:
	s_or_b64 exec, exec, s[34:35]
	v_sub_co_u32_e32 v8, vcc, v6, v10
	v_cmp_ge_i64_e64 s[36:37], v[6:7], v[10:11]
	v_subb_co_u32_e32 v9, vcc, v7, v11, vcc
.LBB1_13:
	v_cmp_lt_i64_e32 vcc, s[20:21], v[8:9]
	v_mov_b32_e32 v6, s21
	v_cndmask_b32_e32 v9, v6, v9, vcc
	v_mov_b32_e32 v6, s20
	v_cndmask_b32_e32 v8, v6, v8, vcc
	v_mov_b32_e32 v7, s21
	v_subrev_co_u32_e32 v6, vcc, s20, v8
	v_mov_b32_e32 v11, v9
	s_xor_b64 s[34:35], s[10:11], -1
	s_mov_b64 s[2:3], -1
	s_xor_b64 s[36:37], s[36:37], -1
	v_subb_co_u32_e32 v7, vcc, v9, v7, vcc
	v_mov_b32_e32 v10, v8
	s_and_saveexec_b64 s[0:1], s[36:37]
	s_cbranch_execz .LBB1_18
; %bb.14:
	s_and_b64 vcc, exec, s[34:35]
                                        ; implicit-def: $sgpr36_sgpr37
	s_cbranch_vccz .LBB1_16
; %bb.15:
	s_add_u32 s36, s22, s4
	s_addc_u32 s37, s23, s5
	s_mov_b64 s[2:3], 0
.LBB1_16:
	v_mov_b32_e32 v10, s36
	v_mov_b32_e32 v7, s5
	s_andn2_b64 vcc, exec, s[2:3]
	v_mov_b32_e32 v11, s37
	v_mov_b32_e32 v6, s4
	s_cbranch_vccnz .LBB1_18
; %bb.17:
	s_sub_u32 s2, s4, s8
	s_subb_u32 s3, s5, s9
	v_mov_b32_e32 v7, s3
	v_add_co_u32_e32 v6, vcc, s2, v12
	v_addc_co_u32_e32 v7, vcc, v13, v7, vcc
	v_mov_b32_e32 v11, s23
	v_add_co_u32_e32 v10, vcc, s22, v6
	v_addc_co_u32_e32 v11, vcc, v7, v11, vcc
.LBB1_18:
	s_or_b64 exec, exec, s[0:1]
	v_mov_b32_e32 v14, s18
	v_mad_u64_u32 v[4:5], s[0:1], s31, v14, v[4:5]
	s_mul_i32 s52, s52, s18
	s_mul_i32 s0, s31, s19
	s_add_i32 s0, s0, s52
	v_add_u32_e32 v5, s0, v5
	v_mul_lo_u32 v16, v5, s24
	v_mul_lo_u32 v17, v4, s25
	v_mad_u64_u32 v[14:15], s[0:1], v4, s24, 0
	s_waitcnt lgkmcnt(0)
	s_ashr_i32 s31, s30, 31
	v_mul_lo_u32 v22, s26, v5
	v_add3_u32 v15, v15, v17, v16
	v_lshlrev_b64 v[14:15], 2, v[14:15]
	v_mov_b32_e32 v16, s15
	v_add_co_u32_e32 v36, vcc, s14, v14
	s_add_u32 s14, s22, s4
	s_addc_u32 s15, s23, s5
	s_sub_u32 s0, s4, s8
	v_addc_co_u32_e32 v37, vcc, v16, v15, vcc
	s_subb_u32 s1, s5, s9
	v_mov_b32_e32 v14, s1
	v_add_co_u32_e32 v16, vcc, s0, v12
	v_addc_co_u32_e32 v17, vcc, v13, v14, vcc
	v_mov_b32_e32 v14, s23
	v_add_co_u32_e32 v18, vcc, s22, v16
	v_addc_co_u32_e32 v19, vcc, v17, v14, vcc
	v_mov_b32_e32 v14, s5
	v_add_co_u32_e32 v40, vcc, s4, v12
	s_and_b64 s[0:1], exec, s[10:11]
	v_addc_co_u32_e32 v41, vcc, v13, v14, vcc
	s_cselect_b32 s0, s9, 0
	s_cselect_b32 s1, s8, 0
	v_mov_b32_e32 v14, s0
	v_subrev_co_u32_e32 v15, vcc, s1, v12
	v_subb_co_u32_e32 v14, vcc, v13, v14, vcc
	v_mul_lo_u32 v23, s27, v4
	v_mad_u64_u32 v[12:13], s[0:1], s26, v4, 0
	v_mov_b32_e32 v21, s15
	v_add_co_u32_e32 v20, vcc, s14, v15
	v_add3_u32 v13, v13, v22, v23
	v_lshlrev_b64 v[12:13], 2, v[12:13]
	v_addc_co_u32_e32 v21, vcc, v21, v14, vcc
	v_mov_b32_e32 v14, s51
	v_add_co_u32_e32 v38, vcc, s50, v12
	v_addc_co_u32_e32 v39, vcc, v14, v13, vcc
	v_mov_b32_e32 v34, 0
	v_mov_b32_e32 v12, 0
	s_mov_b64 s[24:25], 0
	s_mov_b64 s[26:27], 1
	;; [unrolled: 1-line block ×3, first 2 shown]
	v_mov_b32_e32 v24, s33
	v_mov_b32_e32 v35, 0
	;; [unrolled: 1-line block ×4, first 2 shown]
	s_branch .LBB1_20
.LBB1_19:                               ;   in Loop: Header=BB1_20 Depth=1
	s_or_b64 exec, exec, s[2:3]
	s_and_b64 s[2:3], exec, s[38:39]
	v_mov_b32_e32 v25, s26
	s_or_b64 s[18:19], s[2:3], s[18:19]
	v_mov_b32_e32 v26, s27
	s_mov_b64 s[26:27], s[0:1]
	s_andn2_b64 exec, exec, s[18:19]
	s_cbranch_execz .LBB1_70
.LBB1_20:                               ; =>This Loop Header: Depth=1
                                        ;     Child Loop BB1_23 Depth 2
                                        ;       Child Loop BB1_31 Depth 3
                                        ;         Child Loop BB1_41 Depth 4
                                        ;         Child Loop BB1_64 Depth 4
	v_mov_b32_e32 v14, s30
	v_mov_b32_e32 v15, s31
	s_cmp_eq_u64 s[26:27], s[30:31]
	v_cmp_lt_i64_e64 s[0:1], s[26:27], v[14:15]
	s_waitcnt vmcnt(0)
	v_ashrrev_i32_e32 v25, 31, v24
	s_cselect_b64 s[38:39], -1, 0
	s_mov_b64 s[40:41], 0
	s_mov_b64 s[42:43], s[24:25]
                                        ; implicit-def: $sgpr36_sgpr37
	s_branch .LBB1_23
.LBB1_21:                               ;   in Loop: Header=BB1_23 Depth=2
	s_or_b64 exec, exec, s[46:47]
	s_andn2_b64 s[42:43], s[42:43], exec
	s_and_b64 s[44:45], s[44:45], exec
	v_mov_b32_e32 v12, v24
	v_mov_b32_e32 v2, v32
	;; [unrolled: 1-line block ×5, first 2 shown]
	s_xor_b64 s[52:53], exec, -1
	s_or_b64 s[42:43], s[42:43], s[44:45]
	s_orn2_b64 s[50:51], s[0:1], exec
	v_mov_b32_e32 v13, v25
	v_mov_b32_e32 v3, v33
	;; [unrolled: 1-line block ×5, first 2 shown]
.LBB1_22:                               ;   in Loop: Header=BB1_23 Depth=2
	s_or_b64 exec, exec, s[2:3]
	s_xor_b64 s[2:3], s[52:53], -1
	s_and_b64 s[44:45], exec, s[50:51]
	s_or_b64 s[40:41], s[44:45], s[40:41]
	s_andn2_b64 s[24:25], s[24:25], exec
	s_and_b64 s[44:45], s[42:43], exec
	s_andn2_b64 s[36:37], s[36:37], exec
	s_and_b64 s[2:3], s[2:3], exec
	v_mov_b32_e32 v25, v21
	s_or_b64 s[24:25], s[24:25], s[44:45]
	s_or_b64 s[36:37], s[36:37], s[2:3]
	v_mov_b32_e32 v24, v20
	s_andn2_b64 exec, exec, s[40:41]
	s_cbranch_execz .LBB1_68
.LBB1_23:                               ;   Parent Loop BB1_20 Depth=1
                                        ; =>  This Loop Header: Depth=2
                                        ;       Child Loop BB1_31 Depth 3
                                        ;         Child Loop BB1_41 Depth 4
                                        ;         Child Loop BB1_64 Depth 4
	v_mov_b32_e32 v22, v24
	v_mov_b32_e32 v23, v25
	;; [unrolled: 1-line block ×3, first 2 shown]
	s_andn2_b64 s[2:3], s[0:1], exec
	s_and_b64 s[44:45], s[42:43], exec
	v_mov_b32_e32 v25, v13
	v_mov_b32_e32 v33, v3
	;; [unrolled: 1-line block ×6, first 2 shown]
	s_mov_b64 s[50:51], 0
	s_or_b64 s[60:61], s[2:3], s[44:45]
	v_mov_b32_e32 v24, v12
	v_mov_b32_e32 v32, v2
	;; [unrolled: 1-line block ×5, first 2 shown]
                                        ; implicit-def: $sgpr52_sgpr53
                                        ; implicit-def: $sgpr44_sgpr45
                                        ; implicit-def: $sgpr46_sgpr47
                                        ; implicit-def: $sgpr54_sgpr55
                                        ; implicit-def: $sgpr58_sgpr59
                                        ; implicit-def: $sgpr56_sgpr57
                                        ; implicit-def: $sgpr62_sgpr63
	s_branch .LBB1_31
.LBB1_24:                               ;   in Loop: Header=BB1_31 Depth=3
	s_or_b64 exec, exec, s[84:85]
.LBB1_25:                               ;   in Loop: Header=BB1_31 Depth=3
	s_or_b64 exec, exec, s[82:83]
.LBB1_26:                               ;   in Loop: Header=BB1_31 Depth=3
	s_or_b64 exec, exec, s[80:81]
	v_mov_b32_e32 v27, s21
	v_subrev_co_u32_e32 v26, vcc, s20, v30
	v_mov_b32_e32 v28, v30
	v_subb_co_u32_e32 v27, vcc, v31, v27, vcc
	v_mov_b32_e32 v29, v31
.LBB1_27:                               ;   in Loop: Header=BB1_31 Depth=3
	s_or_b64 exec, exec, s[78:79]
.LBB1_28:                               ;   in Loop: Header=BB1_31 Depth=3
	s_or_b64 exec, exec, s[76:77]
	s_andn2_b64 s[2:3], s[72:73], exec
	s_and_b64 s[66:67], s[66:67], exec
	s_or_b64 s[72:73], s[2:3], s[66:67]
	s_andn2_b64 s[2:3], s[70:71], exec
	s_or_b64 s[70:71], s[2:3], s[66:67]
	s_xor_b64 s[76:77], exec, -1
.LBB1_29:                               ;   in Loop: Header=BB1_31 Depth=3
	s_or_b64 exec, exec, s[74:75]
	s_andn2_b64 s[2:3], s[62:63], exec
	s_and_b64 s[62:63], s[72:73], exec
	s_or_b64 s[62:63], s[2:3], s[62:63]
	s_andn2_b64 s[2:3], s[56:57], exec
	s_and_b64 s[56:57], s[68:69], exec
	s_or_b64 s[56:57], s[2:3], s[56:57]
	;; [unrolled: 3-line block ×4, first 2 shown]
.LBB1_30:                               ;   in Loop: Header=BB1_31 Depth=3
	s_or_b64 exec, exec, s[64:65]
	s_and_b64 s[2:3], exec, s[54:55]
	s_or_b64 s[50:51], s[2:3], s[50:51]
	s_andn2_b64 s[2:3], s[60:61], exec
	s_and_b64 s[64:65], s[62:63], exec
	s_or_b64 s[2:3], s[2:3], s[64:65]
	s_andn2_b64 s[46:47], s[46:47], exec
	s_and_b64 s[64:65], s[56:57], exec
	;; [unrolled: 3-line block ×3, first 2 shown]
	s_andn2_b64 s[52:53], s[52:53], exec
	s_and_b64 s[60:61], s[60:61], exec
	s_or_b64 s[44:45], s[44:45], s[64:65]
	s_or_b64 s[52:53], s[52:53], s[60:61]
	s_mov_b64 s[60:61], s[2:3]
	s_andn2_b64 exec, exec, s[50:51]
	s_cbranch_execz .LBB1_65
.LBB1_31:                               ;   Parent Loop BB1_20 Depth=1
                                        ;     Parent Loop BB1_23 Depth=2
                                        ; =>    This Loop Header: Depth=3
                                        ;         Child Loop BB1_41 Depth 4
                                        ;         Child Loop BB1_64 Depth 4
	v_mov_b32_e32 v10, v28
	v_mov_b32_e32 v11, v29
	s_andn2_b64 s[2:3], s[62:63], exec
	s_and_b64 s[64:65], s[60:61], exec
	v_mov_b32_e32 v6, v26
	v_mov_b32_e32 v8, v30
	;; [unrolled: 1-line block ×4, first 2 shown]
	v_cmp_ge_i64_e32 vcc, v[22:23], v[10:11]
	s_or_b64 s[62:63], s[2:3], s[64:65]
	s_andn2_b64 s[2:3], s[58:59], exec
	v_mov_b32_e32 v7, v27
	v_mov_b32_e32 v9, v31
	;; [unrolled: 1-line block ×4, first 2 shown]
	s_or_b64 s[56:57], s[56:57], exec
	s_or_b64 s[58:59], s[2:3], s[64:65]
	s_or_b64 s[54:55], s[54:55], exec
	s_and_saveexec_b64 s[64:65], vcc
	s_cbranch_execz .LBB1_30
; %bb.32:                               ;   in Loop: Header=BB1_31 Depth=3
	v_cmp_le_i64_e32 vcc, s[6:7], v[2:3]
	s_mov_b64 s[68:69], -1
	s_or_b64 s[74:75], s[34:35], vcc
	s_mov_b64 s[76:77], 0
	s_mov_b64 s[2:3], 0
                                        ; implicit-def: $sgpr66_sgpr67
                                        ; implicit-def: $sgpr70_sgpr71
                                        ; implicit-def: $sgpr72_sgpr73
                                        ; implicit-def: $vgpr28_vgpr29
                                        ; implicit-def: $vgpr26_vgpr27
                                        ; implicit-def: $vgpr24_vgpr25
                                        ; implicit-def: $vgpr34_vgpr35
	s_and_saveexec_b64 s[78:79], s[74:75]
	s_xor_b64 s[74:75], exec, s[78:79]
	s_cbranch_execz .LBB1_48
; %bb.33:                               ;   in Loop: Header=BB1_31 Depth=3
	v_cmp_le_i64_e32 vcc, s[6:7], v[2:3]
	s_mov_b64 s[70:71], 0
	s_or_b64 s[76:77], s[10:11], vcc
	s_xor_b64 s[68:69], s[76:77], -1
                                        ; implicit-def: $vgpr34_vgpr35
	s_and_saveexec_b64 s[66:67], s[68:69]
	s_cbranch_execz .LBB1_35
; %bb.34:                               ;   in Loop: Header=BB1_31 Depth=3
	v_lshlrev_b64 v[24:25], 2, v[2:3]
	v_mov_b32_e32 v26, s29
	v_add_co_u32_e32 v24, vcc, s28, v24
	v_addc_co_u32_e32 v25, vcc, v26, v25, vcc
	global_load_dword v34, v[24:25], off
	s_andn2_b64 s[68:69], s[76:77], exec
	s_mov_b64 s[70:71], exec
	s_waitcnt vmcnt(0)
	v_ashrrev_i32_e32 v35, 31, v34
	v_cmp_gt_i64_e32 vcc, v[0:1], v[34:35]
	s_and_b64 s[72:73], vcc, exec
	s_or_b64 s[76:77], s[68:69], s[72:73]
.LBB1_35:                               ;   in Loop: Header=BB1_31 Depth=3
	s_or_b64 exec, exec, s[66:67]
	s_mov_b64 s[72:73], -1
                                        ; implicit-def: $sgpr66_sgpr67
                                        ; implicit-def: $vgpr28_vgpr29
                                        ; implicit-def: $vgpr26_vgpr27
                                        ; implicit-def: $vgpr24_vgpr25
	s_and_saveexec_b64 s[68:69], s[76:77]
	s_cbranch_execz .LBB1_47
; %bb.36:                               ;   in Loop: Header=BB1_31 Depth=3
	v_cmp_gt_i64_e32 vcc, v[22:23], v[6:7]
	v_mov_b32_e32 v29, v11
	s_and_b64 s[66:67], s[10:11], vcc
	v_mov_b32_e32 v27, v7
	v_mov_b32_e32 v25, v13
	s_nor_b64 s[72:73], s[38:39], s[66:67]
	s_mov_b64 s[66:67], s[60:61]
	v_mov_b32_e32 v28, v10
	v_mov_b32_e32 v26, v6
	;; [unrolled: 1-line block ×3, first 2 shown]
	s_and_saveexec_b64 s[76:77], s[72:73]
	s_xor_b64 s[72:73], exec, s[76:77]
	s_cbranch_execz .LBB1_46
; %bb.37:                               ;   in Loop: Header=BB1_31 Depth=3
	v_mov_b32_e32 v29, v19
	v_mov_b32_e32 v27, v17
	;; [unrolled: 1-line block ×3, first 2 shown]
	s_andn2_b64 vcc, exec, s[34:35]
	v_mov_b32_e32 v28, v18
	v_mov_b32_e32 v26, v16
	;; [unrolled: 1-line block ×3, first 2 shown]
	s_cbranch_vccnz .LBB1_45
; %bb.38:                               ;   in Loop: Header=BB1_31 Depth=3
	v_cmp_gt_i64_e32 vcc, s[4:5], v[6:7]
	v_mov_b32_e32 v25, v13
	v_mov_b32_e32 v24, v12
	s_and_saveexec_b64 s[66:67], vcc
	s_cbranch_execz .LBB1_44
; %bb.39:                               ;   in Loop: Header=BB1_31 Depth=3
	v_cmp_gt_i64_e32 vcc, s[4:5], v[10:11]
	v_mov_b32_e32 v24, s5
	v_cndmask_b32_e32 v27, v24, v11, vcc
	v_mov_b32_e32 v24, s4
	v_cndmask_b32_e32 v26, v24, v10, vcc
	v_ashrrev_i32_e32 v29, 31, v6
	v_mov_b32_e32 v28, v6
	v_cmp_lt_i64_e32 vcc, v[28:29], v[26:27]
	v_mov_b32_e32 v25, v13
	v_mov_b32_e32 v24, v12
	s_and_saveexec_b64 s[76:77], vcc
	s_cbranch_execz .LBB1_43
; %bb.40:                               ;   in Loop: Header=BB1_31 Depth=3
	v_lshlrev_b64 v[24:25], 2, v[12:13]
	v_mov_b32_e32 v33, v7
	v_add_co_u32_e32 v30, vcc, v38, v24
	v_addc_co_u32_e32 v31, vcc, v39, v25, vcc
	v_mov_b32_e32 v25, v13
	s_mov_b64 s[78:79], 0
	v_mov_b32_e32 v32, v6
	v_mov_b32_e32 v24, v12
.LBB1_41:                               ;   Parent Loop BB1_20 Depth=1
                                        ;     Parent Loop BB1_23 Depth=2
                                        ;       Parent Loop BB1_31 Depth=3
                                        ; =>      This Inner Loop Header: Depth=4
	v_add_co_u32_e32 v24, vcc, 1, v24
	v_addc_co_u32_e32 v25, vcc, 0, v25, vcc
	v_add_co_u32_e32 v28, vcc, s22, v28
	v_ashrrev_i32_e32 v29, 31, v28
	v_cmp_ge_i64_e64 s[2:3], v[28:29], v[26:27]
	global_store_dword v[30:31], v32, off
	v_add_co_u32_e32 v30, vcc, 4, v30
	v_mov_b32_e32 v33, v29
	v_addc_co_u32_e32 v31, vcc, 0, v31, vcc
	s_or_b64 s[78:79], s[2:3], s[78:79]
	v_mov_b32_e32 v32, v28
	s_andn2_b64 exec, exec, s[78:79]
	s_cbranch_execnz .LBB1_41
; %bb.42:                               ;   in Loop: Header=BB1_31 Depth=3
	s_or_b64 exec, exec, s[78:79]
.LBB1_43:                               ;   in Loop: Header=BB1_31 Depth=3
	s_or_b64 exec, exec, s[76:77]
.LBB1_44:                               ;   in Loop: Header=BB1_31 Depth=3
	s_or_b64 exec, exec, s[66:67]
	v_mov_b32_e32 v29, s15
	v_mov_b32_e32 v27, s5
	;; [unrolled: 1-line block ×4, first 2 shown]
.LBB1_45:                               ;   in Loop: Header=BB1_31 Depth=3
	s_mov_b64 s[2:3], exec
	s_or_b64 s[66:67], s[60:61], exec
.LBB1_46:                               ;   in Loop: Header=BB1_31 Depth=3
	s_or_b64 exec, exec, s[72:73]
	s_xor_b64 s[72:73], exec, -1
	s_and_b64 s[2:3], s[2:3], exec
	s_andn2_b64 s[70:71], s[70:71], exec
.LBB1_47:                               ;   in Loop: Header=BB1_31 Depth=3
	s_or_b64 exec, exec, s[68:69]
	s_orn2_b64 s[68:69], s[72:73], exec
	s_and_b64 s[2:3], s[2:3], exec
	s_and_b64 s[76:77], s[70:71], exec
	s_mov_b64 s[70:71], s[66:67]
	s_mov_b64 s[72:73], s[66:67]
.LBB1_48:                               ;   in Loop: Header=BB1_31 Depth=3
	s_andn2_saveexec_b64 s[74:75], s[74:75]
	s_cbranch_execz .LBB1_50
; %bb.49:                               ;   in Loop: Header=BB1_31 Depth=3
	v_lshlrev_b64 v[30:31], 2, v[2:3]
	v_mov_b32_e32 v32, s29
	v_add_co_u32_e32 v30, vcc, s28, v30
	v_addc_co_u32_e32 v31, vcc, v32, v31, vcc
	global_load_dword v34, v[30:31], off
	s_or_b64 s[76:77], s[76:77], exec
	s_waitcnt vmcnt(0)
	v_ashrrev_i32_e32 v35, 31, v34
.LBB1_50:                               ;   in Loop: Header=BB1_31 Depth=3
	s_or_b64 exec, exec, s[74:75]
	v_mov_b32_e32 v31, v9
	v_mov_b32_e32 v33, v3
	v_mov_b32_e32 v30, v8
	v_mov_b32_e32 v32, v2
	s_and_saveexec_b64 s[74:75], s[76:77]
	s_cbranch_execz .LBB1_56
; %bb.51:                               ;   in Loop: Header=BB1_31 Depth=3
	s_mov_b64 s[76:77], -1
	s_and_b64 vcc, exec, s[34:35]
                                        ; implicit-def: $vgpr30_vgpr31
	s_cbranch_vccz .LBB1_53
; %bb.52:                               ;   in Loop: Header=BB1_31 Depth=3
	v_sub_co_u32_e32 v24, vcc, v40, v34
	v_subb_co_u32_e32 v25, vcc, v41, v35, vcc
	v_cmp_lt_i64_e32 vcc, s[20:21], v[24:25]
	v_mov_b32_e32 v26, s21
	v_cndmask_b32_e32 v31, v26, v25, vcc
	v_mov_b32_e32 v25, s20
	v_cndmask_b32_e32 v30, v25, v24, vcc
	s_mov_b64 s[76:77], 0
.LBB1_53:                               ;   in Loop: Header=BB1_31 Depth=3
	s_andn2_b64 vcc, exec, s[76:77]
	s_cbranch_vccnz .LBB1_55
; %bb.54:                               ;   in Loop: Header=BB1_31 Depth=3
	v_mov_b32_e32 v24, s9
	v_add_co_u32_e32 v25, vcc, s8, v34
	v_addc_co_u32_e32 v26, vcc, v24, v35, vcc
	v_sub_co_u32_e32 v24, vcc, v40, v25
	v_subb_co_u32_e32 v25, vcc, v41, v26, vcc
	v_cmp_lt_i64_e32 vcc, s[20:21], v[24:25]
	v_mov_b32_e32 v26, s21
	v_cndmask_b32_e32 v31, v26, v25, vcc
	v_mov_b32_e32 v25, s20
	v_cndmask_b32_e32 v30, v25, v24, vcc
.LBB1_55:                               ;   in Loop: Header=BB1_31 Depth=3
	v_add_co_u32_e32 v32, vcc, 1, v2
	s_andn2_b64 s[72:73], s[72:73], exec
	s_and_b64 s[76:77], s[60:61], exec
	s_andn2_b64 s[70:71], s[70:71], exec
	s_andn2_b64 s[66:67], s[66:67], exec
	v_mov_b32_e32 v29, v11
	v_mov_b32_e32 v27, v7
	;; [unrolled: 1-line block ×3, first 2 shown]
	v_addc_co_u32_e32 v33, vcc, 0, v3, vcc
	s_or_b64 s[72:73], s[72:73], s[76:77]
	s_or_b64 s[70:71], s[70:71], s[76:77]
	;; [unrolled: 1-line block ×3, first 2 shown]
	s_or_b64 s[2:3], s[2:3], exec
	v_mov_b32_e32 v28, v10
	v_mov_b32_e32 v26, v6
	;; [unrolled: 1-line block ×3, first 2 shown]
.LBB1_56:                               ;   in Loop: Header=BB1_31 Depth=3
	s_or_b64 exec, exec, s[74:75]
	s_mov_b64 s[76:77], -1
	s_and_saveexec_b64 s[74:75], s[2:3]
	s_cbranch_execz .LBB1_29
; %bb.57:                               ;   in Loop: Header=BB1_31 Depth=3
	s_xor_b64 s[2:3], s[66:67], -1
	s_and_saveexec_b64 s[76:77], s[2:3]
	s_xor_b64 s[76:77], exec, s[76:77]
	s_cbranch_execz .LBB1_28
; %bb.58:                               ;   in Loop: Header=BB1_31 Depth=3
	v_mov_b32_e32 v35, s21
	v_add_co_u32_e32 v34, vcc, s20, v28
	v_addc_co_u32_e32 v35, vcc, v29, v35, vcc
	v_cmp_le_i64_e32 vcc, v[30:31], v[34:35]
	s_and_saveexec_b64 s[2:3], vcc
	s_xor_b64 s[2:3], exec, s[2:3]
; %bb.59:                               ;   in Loop: Header=BB1_31 Depth=3
	v_cmp_gt_i64_e32 vcc, v[30:31], v[28:29]
	v_cndmask_b32_e32 v29, v29, v35, vcc
	v_cndmask_b32_e32 v28, v28, v34, vcc
; %bb.60:                               ;   in Loop: Header=BB1_31 Depth=3
	s_andn2_saveexec_b64 s[78:79], s[2:3]
	s_cbranch_execz .LBB1_27
; %bb.61:                               ;   in Loop: Header=BB1_31 Depth=3
	v_cmp_gt_i64_e32 vcc, s[4:5], v[26:27]
	s_and_saveexec_b64 s[80:81], vcc
	s_cbranch_execz .LBB1_26
; %bb.62:                               ;   in Loop: Header=BB1_31 Depth=3
	v_cmp_gt_i64_e32 vcc, s[4:5], v[28:29]
	v_mov_b32_e32 v27, s5
	v_cndmask_b32_e32 v29, v27, v29, vcc
	v_mov_b32_e32 v27, s4
	v_cndmask_b32_e32 v28, v27, v28, vcc
	v_ashrrev_i32_e32 v27, 31, v26
	v_cmp_lt_i64_e32 vcc, v[26:27], v[28:29]
	s_and_saveexec_b64 s[82:83], vcc
	s_cbranch_execz .LBB1_25
; %bb.63:                               ;   in Loop: Header=BB1_31 Depth=3
	v_lshlrev_b64 v[34:35], 2, v[24:25]
	s_mov_b64 s[84:85], 0
	v_add_co_u32_e32 v34, vcc, v38, v34
	v_addc_co_u32_e32 v35, vcc, v39, v35, vcc
.LBB1_64:                               ;   Parent Loop BB1_20 Depth=1
                                        ;     Parent Loop BB1_23 Depth=2
                                        ;       Parent Loop BB1_31 Depth=3
                                        ; =>      This Inner Loop Header: Depth=4
	v_add_co_u32_e32 v24, vcc, 1, v24
	v_addc_co_u32_e32 v25, vcc, 0, v25, vcc
	global_store_dword v[34:35], v26, off
	v_add_co_u32_e32 v26, vcc, s22, v26
	v_ashrrev_i32_e32 v27, 31, v26
	v_cmp_ge_i64_e64 s[2:3], v[26:27], v[28:29]
	v_add_co_u32_e32 v34, vcc, 4, v34
	s_or_b64 s[84:85], s[2:3], s[84:85]
	v_addc_co_u32_e32 v35, vcc, 0, v35, vcc
	s_andn2_b64 exec, exec, s[84:85]
	s_cbranch_execnz .LBB1_64
	s_branch .LBB1_24
.LBB1_65:                               ;   in Loop: Header=BB1_23 Depth=2
	s_or_b64 exec, exec, s[50:51]
	s_andn2_b64 s[2:3], s[42:43], exec
	s_and_b64 s[42:43], s[52:53], exec
	s_mov_b64 s[50:51], -1
	s_or_b64 s[42:43], s[2:3], s[42:43]
	s_mov_b64 s[52:53], -1
                                        ; implicit-def: $vgpr34_vgpr35
	s_and_saveexec_b64 s[2:3], s[46:47]
	s_xor_b64 s[2:3], exec, s[2:3]
	s_cbranch_execz .LBB1_22
; %bb.66:                               ;   in Loop: Header=BB1_23 Depth=2
	v_cmp_lt_i64_e32 vcc, v[22:23], v[26:27]
	v_mov_b32_e32 v35, v15
	v_mov_b32_e32 v34, v14
	s_and_saveexec_b64 s[46:47], vcc
	s_cbranch_execz .LBB1_21
; %bb.67:                               ;   in Loop: Header=BB1_23 Depth=2
	v_lshlrev_b64 v[2:3], 2, v[14:15]
	v_add_co_u32_e32 v2, vcc, v36, v2
	v_addc_co_u32_e32 v3, vcc, v37, v3, vcc
	v_add_co_u32_e32 v34, vcc, 1, v14
	v_addc_co_u32_e32 v35, vcc, 0, v15, vcc
	global_store_dword v[2:3], v22, off
	s_branch .LBB1_21
.LBB1_68:                               ;   in Loop: Header=BB1_20 Depth=1
	s_or_b64 exec, exec, s[40:41]
	s_mov_b64 s[38:39], -1
                                        ; implicit-def: $vgpr24
                                        ; implicit-def: $sgpr0_sgpr1
	s_and_saveexec_b64 s[2:3], s[36:37]
	s_xor_b64 s[2:3], exec, s[2:3]
	s_cbranch_execz .LBB1_19
; %bb.69:                               ;   in Loop: Header=BB1_20 Depth=1
	s_add_u32 s0, s26, 1
	s_addc_u32 s1, s27, 0
	s_lshl_b64 s[36:37], s[26:27], 2
	s_add_u32 s36, s16, s36
	s_addc_u32 s37, s17, s37
	global_load_dword v24, v42, s[36:37]
	s_xor_b64 s[38:39], exec, -1
	s_branch .LBB1_19
.LBB1_70:
	s_or_b64 exec, exec, s[18:19]
	v_cmp_eq_u64_e32 vcc, s[30:31], v[25:26]
	v_cmp_gt_i64_e64 s[0:1], s[4:5], v[22:23]
	s_and_b64 s[2:3], s[34:35], vcc
	s_and_b64 s[2:3], s[2:3], s[0:1]
	s_and_saveexec_b64 s[0:1], s[2:3]
	s_cbranch_execz .LBB1_72
; %bb.71:
	v_lshlrev_b64 v[0:1], 2, v[14:15]
	v_add_co_u32_e32 v0, vcc, v36, v0
	v_addc_co_u32_e32 v1, vcc, v37, v1, vcc
	v_add_co_u32_e32 v14, vcc, 1, v14
	global_store_dword v[0:1], v22, off
.LBB1_72:
	s_or_b64 exec, exec, s[0:1]
	v_cmp_gt_i64_e32 vcc, s[4:5], v[6:7]
	s_and_saveexec_b64 s[2:3], vcc
	s_cbranch_execz .LBB1_78
; %bb.73:
	v_cmp_gt_i64_e32 vcc, s[4:5], v[10:11]
	v_mov_b32_e32 v0, s5
	v_cndmask_b32_e32 v1, v0, v11, vcc
	v_mov_b32_e32 v0, s4
	v_cndmask_b32_e32 v0, v0, v10, vcc
	v_ashrrev_i32_e32 v7, 31, v6
	v_cmp_lt_i64_e32 vcc, v[6:7], v[0:1]
	s_and_saveexec_b64 s[4:5], vcc
	s_cbranch_execz .LBB1_77
; %bb.74:
	v_lshlrev_b64 v[2:3], 2, v[12:13]
	s_mov_b64 s[6:7], 0
	v_add_co_u32_e32 v2, vcc, v38, v2
	v_addc_co_u32_e32 v3, vcc, v39, v3, vcc
.LBB1_75:                               ; =>This Inner Loop Header: Depth=1
	v_add_co_u32_e32 v12, vcc, 1, v12
	v_addc_co_u32_e32 v13, vcc, 0, v13, vcc
	global_store_dword v[2:3], v6, off
	v_add_co_u32_e32 v6, vcc, s22, v6
	v_ashrrev_i32_e32 v7, 31, v6
	v_cmp_ge_i64_e64 s[0:1], v[6:7], v[0:1]
	v_add_co_u32_e32 v2, vcc, 4, v2
	s_or_b64 s[6:7], s[0:1], s[6:7]
	v_addc_co_u32_e32 v3, vcc, 0, v3, vcc
	s_andn2_b64 exec, exec, s[6:7]
	s_cbranch_execnz .LBB1_75
; %bb.76:
	s_or_b64 exec, exec, s[6:7]
.LBB1_77:
	s_or_b64 exec, exec, s[4:5]
.LBB1_78:
	s_or_b64 exec, exec, s[2:3]
	v_lshlrev_b64 v[0:1], 2, v[4:5]
	v_mov_b32_e32 v3, s49
	v_add_co_u32_e32 v2, vcc, s48, v0
	v_addc_co_u32_e32 v3, vcc, v3, v1, vcc
	v_mov_b32_e32 v4, s13
	v_add_co_u32_e32 v0, vcc, s12, v0
	v_addc_co_u32_e32 v1, vcc, v4, v1, vcc
	global_store_dword v[2:3], v12, off
	global_store_dword v[0:1], v14, off
.LBB1_79:
	s_endpgm
	.section	.rodata,"a",@progbits
	.p2align	6, 0x0
	.amdhsa_kernel _Z47convert_vertical_slash_indexes_kernel_mergeheadPKiS0_S0_S0_S0_S0_PiS1_S1_S1_llllllb
		.amdhsa_group_segment_fixed_size 0
		.amdhsa_private_segment_fixed_size 0
		.amdhsa_kernarg_size 392
		.amdhsa_user_sgpr_count 6
		.amdhsa_user_sgpr_private_segment_buffer 1
		.amdhsa_user_sgpr_dispatch_ptr 0
		.amdhsa_user_sgpr_queue_ptr 0
		.amdhsa_user_sgpr_kernarg_segment_ptr 1
		.amdhsa_user_sgpr_dispatch_id 0
		.amdhsa_user_sgpr_flat_scratch_init 0
		.amdhsa_user_sgpr_private_segment_size 0
		.amdhsa_uses_dynamic_stack 0
		.amdhsa_system_sgpr_private_segment_wavefront_offset 0
		.amdhsa_system_sgpr_workgroup_id_x 1
		.amdhsa_system_sgpr_workgroup_id_y 1
		.amdhsa_system_sgpr_workgroup_id_z 1
		.amdhsa_system_sgpr_workgroup_info 0
		.amdhsa_system_vgpr_workitem_id 0
		.amdhsa_next_free_vgpr 43
		.amdhsa_next_free_sgpr 86
		.amdhsa_reserve_vcc 1
		.amdhsa_reserve_flat_scratch 0
		.amdhsa_float_round_mode_32 0
		.amdhsa_float_round_mode_16_64 0
		.amdhsa_float_denorm_mode_32 3
		.amdhsa_float_denorm_mode_16_64 3
		.amdhsa_dx10_clamp 1
		.amdhsa_ieee_mode 1
		.amdhsa_fp16_overflow 0
		.amdhsa_exception_fp_ieee_invalid_op 0
		.amdhsa_exception_fp_denorm_src 0
		.amdhsa_exception_fp_ieee_div_zero 0
		.amdhsa_exception_fp_ieee_overflow 0
		.amdhsa_exception_fp_ieee_underflow 0
		.amdhsa_exception_fp_ieee_inexact 0
		.amdhsa_exception_int_div_zero 0
	.end_amdhsa_kernel
	.text
.Lfunc_end1:
	.size	_Z47convert_vertical_slash_indexes_kernel_mergeheadPKiS0_S0_S0_S0_S0_PiS1_S1_S1_llllllb, .Lfunc_end1-_Z47convert_vertical_slash_indexes_kernel_mergeheadPKiS0_S0_S0_S0_S0_PiS1_S1_S1_llllllb
                                        ; -- End function
	.set _Z47convert_vertical_slash_indexes_kernel_mergeheadPKiS0_S0_S0_S0_S0_PiS1_S1_S1_llllllb.num_vgpr, 43
	.set _Z47convert_vertical_slash_indexes_kernel_mergeheadPKiS0_S0_S0_S0_S0_PiS1_S1_S1_llllllb.num_agpr, 0
	.set _Z47convert_vertical_slash_indexes_kernel_mergeheadPKiS0_S0_S0_S0_S0_PiS1_S1_S1_llllllb.numbered_sgpr, 86
	.set _Z47convert_vertical_slash_indexes_kernel_mergeheadPKiS0_S0_S0_S0_S0_PiS1_S1_S1_llllllb.num_named_barrier, 0
	.set _Z47convert_vertical_slash_indexes_kernel_mergeheadPKiS0_S0_S0_S0_S0_PiS1_S1_S1_llllllb.private_seg_size, 0
	.set _Z47convert_vertical_slash_indexes_kernel_mergeheadPKiS0_S0_S0_S0_S0_PiS1_S1_S1_llllllb.uses_vcc, 1
	.set _Z47convert_vertical_slash_indexes_kernel_mergeheadPKiS0_S0_S0_S0_S0_PiS1_S1_S1_llllllb.uses_flat_scratch, 0
	.set _Z47convert_vertical_slash_indexes_kernel_mergeheadPKiS0_S0_S0_S0_S0_PiS1_S1_S1_llllllb.has_dyn_sized_stack, 0
	.set _Z47convert_vertical_slash_indexes_kernel_mergeheadPKiS0_S0_S0_S0_S0_PiS1_S1_S1_llllllb.has_recursion, 0
	.set _Z47convert_vertical_slash_indexes_kernel_mergeheadPKiS0_S0_S0_S0_S0_PiS1_S1_S1_llllllb.has_indirect_call, 0
	.section	.AMDGPU.csdata,"",@progbits
; Kernel info:
; codeLenInByte = 2980
; TotalNumSgprs: 90
; NumVgprs: 43
; ScratchSize: 0
; MemoryBound: 0
; FloatMode: 240
; IeeeMode: 1
; LDSByteSize: 0 bytes/workgroup (compile time only)
; SGPRBlocks: 11
; VGPRBlocks: 10
; NumSGPRsForWavesPerEU: 90
; NumVGPRsForWavesPerEU: 43
; Occupancy: 5
; WaveLimiterHint : 0
; COMPUTE_PGM_RSRC2:SCRATCH_EN: 0
; COMPUTE_PGM_RSRC2:USER_SGPR: 6
; COMPUTE_PGM_RSRC2:TRAP_HANDLER: 0
; COMPUTE_PGM_RSRC2:TGID_X_EN: 1
; COMPUTE_PGM_RSRC2:TGID_Y_EN: 1
; COMPUTE_PGM_RSRC2:TGID_Z_EN: 1
; COMPUTE_PGM_RSRC2:TIDIG_COMP_CNT: 0
	.section	.AMDGPU.gpr_maximums,"",@progbits
	.set amdgpu.max_num_vgpr, 0
	.set amdgpu.max_num_agpr, 0
	.set amdgpu.max_num_sgpr, 0
	.section	.AMDGPU.csdata,"",@progbits
	.type	__hip_cuid_d8fd37717daea9b3,@object ; @__hip_cuid_d8fd37717daea9b3
	.section	.bss,"aw",@nobits
	.globl	__hip_cuid_d8fd37717daea9b3
__hip_cuid_d8fd37717daea9b3:
	.byte	0                               ; 0x0
	.size	__hip_cuid_d8fd37717daea9b3, 1

	.ident	"AMD clang version 22.0.0git (https://github.com/RadeonOpenCompute/llvm-project roc-7.2.4 26084 f58b06dce1f9c15707c5f808fd002e18c2accf7e)"
	.section	".note.GNU-stack","",@progbits
	.addrsig
	.addrsig_sym __hip_cuid_d8fd37717daea9b3
	.amdgpu_metadata
---
amdhsa.kernels:
  - .args:
      - .address_space:  global
        .offset:         0
        .size:           8
        .value_kind:     global_buffer
      - .address_space:  global
        .offset:         8
        .size:           8
        .value_kind:     global_buffer
      - .address_space:  global
        .offset:         16
        .size:           8
        .value_kind:     global_buffer
      - .address_space:  global
        .offset:         24
        .size:           8
        .value_kind:     global_buffer
      - .address_space:  global
        .offset:         32
        .size:           8
        .value_kind:     global_buffer
      - .address_space:  global
        .offset:         40
        .size:           8
        .value_kind:     global_buffer
      - .address_space:  global
        .offset:         48
        .size:           8
        .value_kind:     global_buffer
      - .address_space:  global
        .offset:         56
        .size:           8
        .value_kind:     global_buffer
      - .offset:         64
        .size:           8
        .value_kind:     by_value
      - .offset:         72
        .size:           8
        .value_kind:     by_value
      - .offset:         80
        .size:           8
        .value_kind:     by_value
      - .offset:         88
        .size:           8
        .value_kind:     by_value
      - .offset:         96
        .size:           8
        .value_kind:     by_value
      - .offset:         104
        .size:           8
        .value_kind:     by_value
      - .offset:         112
        .size:           1
        .value_kind:     by_value
      - .offset:         120
        .size:           4
        .value_kind:     hidden_block_count_x
      - .offset:         124
        .size:           4
        .value_kind:     hidden_block_count_y
      - .offset:         128
        .size:           4
        .value_kind:     hidden_block_count_z
      - .offset:         132
        .size:           2
        .value_kind:     hidden_group_size_x
      - .offset:         134
        .size:           2
        .value_kind:     hidden_group_size_y
      - .offset:         136
        .size:           2
        .value_kind:     hidden_group_size_z
      - .offset:         138
        .size:           2
        .value_kind:     hidden_remainder_x
      - .offset:         140
        .size:           2
        .value_kind:     hidden_remainder_y
      - .offset:         142
        .size:           2
        .value_kind:     hidden_remainder_z
      - .offset:         160
        .size:           8
        .value_kind:     hidden_global_offset_x
      - .offset:         168
        .size:           8
        .value_kind:     hidden_global_offset_y
      - .offset:         176
        .size:           8
        .value_kind:     hidden_global_offset_z
      - .offset:         184
        .size:           2
        .value_kind:     hidden_grid_dims
    .group_segment_fixed_size: 0
    .kernarg_segment_align: 8
    .kernarg_segment_size: 376
    .language:       OpenCL C
    .language_version:
      - 2
      - 0
    .max_flat_workgroup_size: 1024
    .name:           _Z37convert_vertical_slash_indexes_kernelPKiS0_S0_S0_PiS1_S1_S1_llllllb
    .private_segment_fixed_size: 0
    .sgpr_count:     90
    .sgpr_spill_count: 0
    .symbol:         _Z37convert_vertical_slash_indexes_kernelPKiS0_S0_S0_PiS1_S1_S1_llllllb.kd
    .uniform_work_group_size: 1
    .uses_dynamic_stack: false
    .vgpr_count:     43
    .vgpr_spill_count: 0
    .wavefront_size: 64
  - .args:
      - .address_space:  global
        .offset:         0
        .size:           8
        .value_kind:     global_buffer
      - .address_space:  global
        .offset:         8
        .size:           8
        .value_kind:     global_buffer
      - .address_space:  global
        .offset:         16
        .size:           8
        .value_kind:     global_buffer
      - .address_space:  global
        .offset:         24
        .size:           8
        .value_kind:     global_buffer
      - .address_space:  global
        .offset:         32
        .size:           8
        .value_kind:     global_buffer
      - .address_space:  global
        .offset:         40
        .size:           8
        .value_kind:     global_buffer
      - .address_space:  global
        .offset:         48
        .size:           8
        .value_kind:     global_buffer
      - .address_space:  global
        .offset:         56
        .size:           8
        .value_kind:     global_buffer
      - .address_space:  global
        .offset:         64
        .size:           8
        .value_kind:     global_buffer
      - .address_space:  global
        .offset:         72
        .size:           8
        .value_kind:     global_buffer
      - .offset:         80
        .size:           8
        .value_kind:     by_value
      - .offset:         88
        .size:           8
        .value_kind:     by_value
      - .offset:         96
        .size:           8
        .value_kind:     by_value
      - .offset:         104
        .size:           8
        .value_kind:     by_value
      - .offset:         112
        .size:           8
        .value_kind:     by_value
      - .offset:         120
        .size:           8
        .value_kind:     by_value
      - .offset:         128
        .size:           1
        .value_kind:     by_value
      - .offset:         136
        .size:           4
        .value_kind:     hidden_block_count_x
      - .offset:         140
        .size:           4
        .value_kind:     hidden_block_count_y
      - .offset:         144
        .size:           4
        .value_kind:     hidden_block_count_z
      - .offset:         148
        .size:           2
        .value_kind:     hidden_group_size_x
      - .offset:         150
        .size:           2
        .value_kind:     hidden_group_size_y
      - .offset:         152
        .size:           2
        .value_kind:     hidden_group_size_z
      - .offset:         154
        .size:           2
        .value_kind:     hidden_remainder_x
      - .offset:         156
        .size:           2
        .value_kind:     hidden_remainder_y
      - .offset:         158
        .size:           2
        .value_kind:     hidden_remainder_z
      - .offset:         176
        .size:           8
        .value_kind:     hidden_global_offset_x
      - .offset:         184
        .size:           8
        .value_kind:     hidden_global_offset_y
      - .offset:         192
        .size:           8
        .value_kind:     hidden_global_offset_z
      - .offset:         200
        .size:           2
        .value_kind:     hidden_grid_dims
    .group_segment_fixed_size: 0
    .kernarg_segment_align: 8
    .kernarg_segment_size: 392
    .language:       OpenCL C
    .language_version:
      - 2
      - 0
    .max_flat_workgroup_size: 1024
    .name:           _Z47convert_vertical_slash_indexes_kernel_mergeheadPKiS0_S0_S0_S0_S0_PiS1_S1_S1_llllllb
    .private_segment_fixed_size: 0
    .sgpr_count:     90
    .sgpr_spill_count: 0
    .symbol:         _Z47convert_vertical_slash_indexes_kernel_mergeheadPKiS0_S0_S0_S0_S0_PiS1_S1_S1_llllllb.kd
    .uniform_work_group_size: 1
    .uses_dynamic_stack: false
    .vgpr_count:     43
    .vgpr_spill_count: 0
    .wavefront_size: 64
amdhsa.target:   amdgcn-amd-amdhsa--gfx906
amdhsa.version:
  - 1
  - 2
...

	.end_amdgpu_metadata
